;; amdgpu-corpus repo=ROCm/rocFFT kind=compiled arch=gfx1201 opt=O3
	.text
	.amdgcn_target "amdgcn-amd-amdhsa--gfx1201"
	.amdhsa_code_object_version 6
	.protected	bluestein_single_fwd_len99_dim1_dp_op_CI_CI ; -- Begin function bluestein_single_fwd_len99_dim1_dp_op_CI_CI
	.globl	bluestein_single_fwd_len99_dim1_dp_op_CI_CI
	.p2align	8
	.type	bluestein_single_fwd_len99_dim1_dp_op_CI_CI,@function
bluestein_single_fwd_len99_dim1_dp_op_CI_CI: ; @bluestein_single_fwd_len99_dim1_dp_op_CI_CI
; %bb.0:
	s_load_b128 s[8:11], s[0:1], 0x28
	v_mul_u32_u24_e32 v1, 0x1746, v0
	s_mov_b32 s2, exec_lo
	s_delay_alu instid0(VALU_DEP_1) | instskip(NEXT) | instid1(VALU_DEP_1)
	v_lshrrev_b32_e32 v1, 16, v1
	v_mad_co_u64_u32 v[120:121], null, ttmp9, 20, v[1:2]
	v_mov_b32_e32 v121, 0
                                        ; kill: def $vgpr2 killed $sgpr0 killed $exec
	s_wait_kmcnt 0x0
	s_delay_alu instid0(VALU_DEP_1)
	v_cmpx_gt_u64_e64 s[8:9], v[120:121]
	s_cbranch_execz .LBB0_10
; %bb.1:
	s_load_b128 s[4:7], s[0:1], 0x18
	v_mul_lo_u16 v1, v1, 11
	v_mul_hi_u32 v110, 0xcccccccd, v120
	s_delay_alu instid0(VALU_DEP_2) | instskip(NEXT) | instid1(VALU_DEP_2)
	v_sub_nc_u16 v40, v0, v1
	v_lshrrev_b32_e32 v110, 4, v110
	s_delay_alu instid0(VALU_DEP_2) | instskip(NEXT) | instid1(VALU_DEP_1)
	v_and_b32_e32 v239, 0xffff, v40
	v_lshlrev_b32_e32 v41, 4, v239
	s_wait_kmcnt 0x0
	s_load_b128 s[12:15], s[4:5], 0x0
	s_wait_kmcnt 0x0
	v_mad_co_u64_u32 v[0:1], null, s14, v120, 0
	v_mad_co_u64_u32 v[2:3], null, s12, v239, 0
	s_mul_u64 s[2:3], s[12:13], 0x210
	s_mul_i32 s4, s13, 0xfffffc90
	s_delay_alu instid0(SALU_CYCLE_1) | instskip(NEXT) | instid1(VALU_DEP_1)
	s_sub_co_i32 s4, s4, s12
	v_mad_co_u64_u32 v[4:5], null, s15, v120, v[1:2]
	s_delay_alu instid0(VALU_DEP_1) | instskip(SKIP_2) | instid1(VALU_DEP_1)
	v_mad_co_u64_u32 v[5:6], null, s13, v239, v[3:4]
	v_mov_b32_e32 v1, v4
	s_mov_b32 s13, 0xbfebb67a
	v_lshlrev_b64_e32 v[0:1], 4, v[0:1]
	s_delay_alu instid0(VALU_DEP_3) | instskip(NEXT) | instid1(VALU_DEP_2)
	v_mov_b32_e32 v3, v5
	v_add_co_u32 v0, vcc_lo, s10, v0
	s_delay_alu instid0(VALU_DEP_2) | instskip(NEXT) | instid1(VALU_DEP_4)
	v_lshlrev_b64_e32 v[2:3], 4, v[2:3]
	v_add_co_ci_u32_e32 v1, vcc_lo, s11, v1, vcc_lo
	s_load_b128 s[8:11], s[0:1], 0x0
	s_delay_alu instid0(VALU_DEP_2) | instskip(SKIP_1) | instid1(VALU_DEP_2)
	v_add_co_u32 v28, vcc_lo, v0, v2
	s_wait_alu 0xfffd
	v_add_co_ci_u32_e32 v29, vcc_lo, v1, v3, vcc_lo
	s_wait_kmcnt 0x0
	s_clause 0x2
	global_load_b128 v[0:3], v41, s[8:9]
	global_load_b128 v[250:253], v41, s[8:9] offset:176
	global_load_b128 v[246:249], v41, s[8:9] offset:704
	v_add_co_u32 v30, vcc_lo, v28, s2
	s_wait_alu 0xfffd
	v_add_co_ci_u32_e32 v31, vcc_lo, s3, v29, vcc_lo
	s_delay_alu instid0(VALU_DEP_2) | instskip(SKIP_1) | instid1(VALU_DEP_2)
	v_add_co_u32 v32, vcc_lo, v30, s2
	s_wait_alu 0xfffd
	v_add_co_ci_u32_e32 v33, vcc_lo, s3, v31, vcc_lo
	s_delay_alu instid0(VALU_DEP_1) | instskip(NEXT) | instid1(VALU_DEP_1)
	v_mad_co_u64_u32 v[34:35], null, 0xfffffc90, s12, v[32:33]
	v_add_nc_u32_e32 v35, s4, v35
	s_delay_alu instid0(VALU_DEP_2)
	v_add_co_u32 v54, vcc_lo, v34, s2
	s_clause 0x3
	global_load_b128 v[20:23], v41, s[8:9] offset:1056
	global_load_b128 v[12:15], v41, s[8:9] offset:1232
	;; [unrolled: 1-line block ×4, first 2 shown]
	s_clause 0x3
	global_load_b128 v[36:39], v[28:29], off
	global_load_b128 v[42:45], v[30:31], off
	;; [unrolled: 1-line block ×4, first 2 shown]
	s_wait_alu 0xfffd
	v_add_co_ci_u32_e32 v55, vcc_lo, s3, v35, vcc_lo
	v_add_co_u32 v58, vcc_lo, v54, s2
	s_wait_alu 0xfffd
	s_delay_alu instid0(VALU_DEP_2)
	v_add_co_ci_u32_e32 v59, vcc_lo, s3, v55, vcc_lo
	global_load_b128 v[54:57], v[54:55], off
	v_mad_co_u64_u32 v[62:63], null, 0xfffffc90, s12, v[58:59]
	global_load_b128 v[58:61], v[58:59], off
	v_add_nc_u32_e32 v63, s4, v63
	v_add_co_u32 v32, vcc_lo, v62, s2
	s_wait_alu 0xfffd
	s_delay_alu instid0(VALU_DEP_2) | instskip(NEXT) | instid1(VALU_DEP_2)
	v_add_co_ci_u32_e32 v33, vcc_lo, s3, v63, vcc_lo
	v_add_co_u32 v70, vcc_lo, v32, s2
	s_wait_alu 0xfffd
	s_delay_alu instid0(VALU_DEP_2)
	v_add_co_ci_u32_e32 v71, vcc_lo, s3, v33, vcc_lo
	global_load_b128 v[62:65], v[62:63], off
	global_load_b128 v[28:31], v41, s[8:9] offset:880
	global_load_b128 v[66:69], v[32:33], off
	global_load_b128 v[32:35], v41, s[8:9] offset:1408
	global_load_b128 v[70:73], v[70:71], off
	s_load_b128 s[4:7], s[6:7], 0x0
	s_mov_b32 s2, 0xe8584caa
	s_mov_b32 s3, 0x3febb67a
	s_wait_alu 0xfffe
	s_mov_b32 s12, s2
	v_cmp_gt_u16_e32 vcc_lo, 9, v40
	s_wait_loadcnt 0x11
	scratch_store_b128 off, v[0:3], off     ; 16-byte Folded Spill
	s_wait_loadcnt 0xa
	v_mul_f64_e32 v[74:75], v[38:39], v[2:3]
	v_mul_f64_e32 v[76:77], v[36:37], v[2:3]
	s_wait_loadcnt 0x8
	v_mul_f64_e32 v[82:83], v[48:49], v[22:23]
	s_wait_loadcnt 0x7
	v_mul_f64_e32 v[86:87], v[52:53], v[252:253]
	v_mul_f64_e32 v[88:89], v[50:51], v[252:253]
	;; [unrolled: 1-line block ×5, first 2 shown]
	s_wait_loadcnt 0x6
	v_mul_f64_e32 v[90:91], v[56:57], v[248:249]
	v_mul_f64_e32 v[92:93], v[54:55], v[248:249]
	s_wait_loadcnt 0x5
	v_mul_f64_e32 v[94:95], v[60:61], v[14:15]
	v_mul_f64_e32 v[96:97], v[58:59], v[14:15]
	;; [unrolled: 3-line block ×5, first 2 shown]
	v_fma_f64 v[36:37], v[36:37], v[0:1], v[74:75]
	v_fma_f64 v[38:39], v[38:39], v[0:1], -v[76:77]
	v_fma_f64 v[46:47], v[46:47], v[20:21], v[82:83]
	v_fma_f64 v[50:51], v[50:51], v[250:251], v[86:87]
	v_fma_f64 v[52:53], v[52:53], v[250:251], -v[88:89]
	v_fma_f64 v[48:49], v[48:49], v[20:21], -v[84:85]
	v_fma_f64 v[42:43], v[42:43], v[24:25], v[78:79]
	v_fma_f64 v[44:45], v[44:45], v[24:25], -v[80:81]
	v_mul_lo_u32 v74, v110, 20
	v_fma_f64 v[54:55], v[54:55], v[246:247], v[90:91]
	v_fma_f64 v[56:57], v[56:57], v[246:247], -v[92:93]
	s_delay_alu instid0(VALU_DEP_3) | instskip(SKIP_2) | instid1(VALU_DEP_3)
	v_sub_nc_u32_e32 v74, v120, v74
	v_fma_f64 v[58:59], v[58:59], v[12:13], v[94:95]
	v_fma_f64 v[60:61], v[60:61], v[12:13], -v[96:97]
	v_mul_u32_u24_e32 v74, 0x63, v74
	s_delay_alu instid0(VALU_DEP_1)
	v_lshlrev_b32_e32 v235, 4, v74
	v_fma_f64 v[62:63], v[62:63], v[16:17], v[98:99]
	v_fma_f64 v[64:65], v[64:65], v[16:17], -v[100:101]
	v_fma_f64 v[66:67], v[66:67], v[28:29], v[102:103]
	v_fma_f64 v[68:69], v[68:69], v[28:29], -v[104:105]
	;; [unrolled: 2-line block ×3, first 2 shown]
	v_add_nc_u32_e32 v236, v41, v235
	v_add_co_u32 v100, null, v239, 11
	v_add_co_u32 v101, null, v239, 22
	ds_store_b128 v236, v[36:39]
	ds_store_b128 v236, v[50:53] offset:176
	ds_store_b128 v236, v[46:49] offset:1056
	;; [unrolled: 1-line block ×8, first 2 shown]
	global_wb scope:SCOPE_SE
	s_wait_storecnt_dscnt 0x0
	s_wait_kmcnt 0x0
	s_barrier_signal -1
	s_barrier_wait -1
	global_inv scope:SCOPE_SE
	ds_load_b128 v[36:39], v236 offset:528
	ds_load_b128 v[42:45], v236 offset:1056
	;; [unrolled: 1-line block ×7, first 2 shown]
	ds_load_b128 v[66:69], v236
	ds_load_b128 v[70:73], v236 offset:176
	v_and_b32_e32 v102, 0xff, v101
	global_wb scope:SCOPE_SE
	s_wait_dscnt 0x0
	s_barrier_signal -1
	s_barrier_wait -1
	global_inv scope:SCOPE_SE
	v_add_f64_e32 v[74:75], v[36:37], v[42:43]
	v_add_f64_e32 v[76:77], v[38:39], v[44:45]
	;; [unrolled: 1-line block ×7, first 2 shown]
	v_add_f64_e64 v[88:89], v[38:39], -v[44:45]
	v_add_f64_e32 v[38:39], v[68:69], v[38:39]
	v_add_f64_e32 v[90:91], v[70:71], v[50:51]
	;; [unrolled: 1-line block ×5, first 2 shown]
	v_add_f64_e64 v[98:99], v[54:55], -v[58:59]
	v_fma_f64 v[66:67], v[74:75], -0.5, v[66:67]
	v_add_f64_e64 v[74:75], v[36:37], -v[42:43]
	v_and_b32_e32 v36, 0xff, v40
	v_fma_f64 v[68:69], v[76:77], -0.5, v[68:69]
	v_add_f64_e64 v[76:77], v[52:53], -v[48:49]
	v_fma_f64 v[70:71], v[78:79], -0.5, v[70:71]
	v_add_f64_e64 v[78:79], v[50:51], -v[46:47]
	;; [unrolled: 2-line block ×3, first 2 shown]
	v_fma_f64 v[82:83], v[82:83], -0.5, v[62:63]
	v_fma_f64 v[84:85], v[84:85], -0.5, v[64:65]
	v_and_b32_e32 v37, 0xff, v100
	v_mul_lo_u16 v36, 0xab, v36
	v_add_f64_e32 v[38:39], v[38:39], v[44:45]
	v_add_f64_e32 v[44:45], v[92:93], v[48:49]
	;; [unrolled: 1-line block ×3, first 2 shown]
	v_mul_lo_u16 v37, 0xab, v37
	v_lshrrev_b16 v125, 9, v36
	s_delay_alu instid0(VALU_DEP_2)
	v_lshrrev_b16 v126, 9, v37
	v_add_f64_e32 v[36:37], v[86:87], v[42:43]
	v_add_f64_e32 v[42:43], v[90:91], v[46:47]
	;; [unrolled: 1-line block ×3, first 2 shown]
	v_fma_f64 v[50:51], v[88:89], s[2:3], v[66:67]
	s_wait_alu 0xfffe
	v_fma_f64 v[54:55], v[88:89], s[12:13], v[66:67]
	v_fma_f64 v[52:53], v[74:75], s[12:13], v[68:69]
	;; [unrolled: 1-line block ×11, first 2 shown]
	v_mul_lo_u16 v74, v125, 3
	v_mul_lo_u16 v75, 0xab, v102
	;; [unrolled: 1-line block ×4, first 2 shown]
	v_mul_u32_u24_e32 v79, 3, v101
	v_sub_nc_u16 v127, v40, v74
	v_lshrrev_b16 v128, 9, v75
	v_sub_nc_u16 v129, v100, v76
	v_and_b32_e32 v74, 0xffff, v77
	v_mul_u32_u24_e32 v75, 3, v100
	v_lshlrev_b16 v76, 1, v127
	v_mul_lo_u16 v77, v128, 3
	v_lshlrev_b16 v78, 1, v129
	v_lshl_add_u32 v243, v74, 4, v235
	v_lshl_add_u32 v242, v75, 4, v235
	v_and_b32_e32 v74, 0xfe, v76
	v_sub_nc_u16 v76, v101, v77
	v_and_b32_e32 v77, 0xfe, v78
	v_lshl_add_u32 v240, v79, 4, v235
	ds_store_b128 v243, v[36:39]
	ds_store_b128 v243, v[50:53] offset:16
	ds_store_b128 v243, v[54:57] offset:32
	ds_store_b128 v242, v[42:45]
	ds_store_b128 v242, v[58:61] offset:16
	ds_store_b128 v242, v[62:65] offset:32
	;; [unrolled: 3-line block ×3, first 2 shown]
	v_and_b32_e32 v130, 0xff, v76
	v_lshlrev_b32_e32 v78, 4, v74
	v_lshlrev_b32_e32 v76, 4, v77
	global_wb scope:SCOPE_SE
	s_wait_dscnt 0x0
	s_barrier_signal -1
	v_lshlrev_b32_e32 v36, 5, v130
	s_barrier_wait -1
	global_inv scope:SCOPE_SE
	s_clause 0x5
	global_load_b128 v[72:75], v78, s[10:11]
	global_load_b128 v[68:71], v78, s[10:11] offset:16
	global_load_b128 v[60:63], v76, s[10:11]
	global_load_b128 v[56:59], v76, s[10:11] offset:16
	;; [unrolled: 2-line block ×3, first 2 shown]
	ds_load_b128 v[36:39], v236 offset:528
	ds_load_b128 v[42:45], v236 offset:1056
	ds_load_b128 v[46:49], v236 offset:704
	ds_load_b128 v[50:53], v236 offset:1232
	ds_load_b128 v[64:67], v236 offset:880
	ds_load_b128 v[84:87], v236 offset:1408
	ds_load_b128 v[88:91], v236 offset:352
	s_wait_loadcnt_dscnt 0x304
	v_mul_f64_e32 v[98:99], v[48:49], v[62:63]
	v_mul_f64_e32 v[54:55], v[38:39], v[74:75]
	;; [unrolled: 1-line block ×5, first 2 shown]
	s_wait_loadcnt_dscnt 0x203
	v_mul_f64_e32 v[100:101], v[52:53], v[58:59]
	v_mul_f64_e32 v[102:103], v[46:47], v[62:63]
	;; [unrolled: 1-line block ×3, first 2 shown]
	s_wait_loadcnt_dscnt 0x102
	v_mul_f64_e32 v[106:107], v[66:67], v[82:83]
	s_wait_loadcnt_dscnt 0x1
	v_mul_f64_e32 v[108:109], v[86:87], v[78:79]
	v_mul_f64_e32 v[110:111], v[64:65], v[82:83]
	;; [unrolled: 1-line block ×3, first 2 shown]
	v_fma_f64 v[46:47], v[46:47], v[60:61], -v[98:99]
	v_fma_f64 v[54:55], v[36:37], v[72:73], -v[54:55]
	;; [unrolled: 1-line block ×3, first 2 shown]
	v_fma_f64 v[94:95], v[38:39], v[72:73], v[94:95]
	v_fma_f64 v[96:97], v[44:45], v[68:69], v[96:97]
	v_fma_f64 v[50:51], v[50:51], v[56:57], -v[100:101]
	v_fma_f64 v[48:49], v[48:49], v[60:61], v[102:103]
	v_fma_f64 v[52:53], v[52:53], v[56:57], v[104:105]
	v_fma_f64 v[64:65], v[64:65], v[80:81], -v[106:107]
	v_fma_f64 v[84:85], v[84:85], v[76:77], -v[108:109]
	v_fma_f64 v[66:67], v[66:67], v[80:81], v[110:111]
	v_fma_f64 v[86:87], v[86:87], v[76:77], v[112:113]
	ds_load_b128 v[36:39], v236
	ds_load_b128 v[42:45], v236 offset:176
	global_wb scope:SCOPE_SE
	s_wait_dscnt 0x0
	s_barrier_signal -1
	s_barrier_wait -1
	global_inv scope:SCOPE_SE
	v_add_f64_e32 v[114:115], v[42:43], v[46:47]
	v_add_f64_e32 v[110:111], v[36:37], v[54:55]
	v_add_f64_e32 v[98:99], v[54:55], v[92:93]
	v_add_f64_e64 v[54:55], v[54:55], -v[92:93]
	v_add_f64_e32 v[100:101], v[94:95], v[96:97]
	v_add_f64_e32 v[102:103], v[46:47], v[50:51]
	v_add_f64_e64 v[112:113], v[94:95], -v[96:97]
	v_add_f64_e32 v[104:105], v[48:49], v[52:53]
	v_add_f64_e32 v[94:95], v[38:39], v[94:95]
	;; [unrolled: 1-line block ×7, first 2 shown]
	v_add_f64_e64 v[123:124], v[48:49], -v[52:53]
	v_add_f64_e64 v[66:67], v[66:67], -v[86:87]
	;; [unrolled: 1-line block ×3, first 2 shown]
	v_add_f64_e32 v[48:49], v[114:115], v[50:51]
	v_fma_f64 v[98:99], v[98:99], -0.5, v[36:37]
	v_fma_f64 v[100:101], v[100:101], -0.5, v[38:39]
	;; [unrolled: 1-line block ×3, first 2 shown]
	v_add_f64_e64 v[102:103], v[46:47], -v[50:51]
	v_fma_f64 v[104:105], v[104:105], -0.5, v[44:45]
	v_fma_f64 v[88:89], v[106:107], -0.5, v[88:89]
	v_add_f64_e32 v[50:51], v[116:117], v[52:53]
	v_fma_f64 v[90:91], v[108:109], -0.5, v[90:91]
	v_add_f64_e32 v[108:109], v[110:111], v[92:93]
	v_add_f64_e32 v[110:111], v[94:95], v[96:97]
	;; [unrolled: 1-line block ×4, first 2 shown]
	v_mad_u16 v52, v125, 9, v127
	v_mad_u16 v53, v126, 9, v129
	s_delay_alu instid0(VALU_DEP_2) | instskip(NEXT) | instid1(VALU_DEP_1)
	v_and_b32_e32 v40, 0xff, v52
	v_lshl_add_u32 v241, v40, 4, v235
	v_fma_f64 v[36:37], v[112:113], s[2:3], v[98:99]
	v_fma_f64 v[44:45], v[112:113], s[12:13], v[98:99]
	;; [unrolled: 1-line block ×12, first 2 shown]
	s_load_b64 s[2:3], s[0:1], 0x38
	v_and_b32_e32 v42, 0xffff, v128
	v_add_co_u32 v116, s0, s8, v41
	s_wait_alu 0xf1ff
	v_add_co_ci_u32_e64 v117, null, s9, 0, s0
	s_delay_alu instid0(VALU_DEP_3) | instskip(SKIP_1) | instid1(VALU_DEP_2)
	v_mul_u32_u24_e32 v54, 9, v42
	v_and_b32_e32 v42, 0xff, v53
                                        ; implicit-def: $vgpr52_vgpr53
                                        ; implicit-def: $vgpr88_vgpr89
	v_add_nc_u32_e32 v43, v54, v130
	s_delay_alu instid0(VALU_DEP_2) | instskip(NEXT) | instid1(VALU_DEP_2)
	v_lshl_add_u32 v238, v42, 4, v235
	v_lshl_add_u32 v237, v43, 4, v235
	ds_store_b128 v241, v[108:111]
	ds_store_b128 v241, v[36:39] offset:48
	ds_store_b128 v241, v[44:47] offset:96
	ds_store_b128 v238, v[48:51]
	ds_store_b128 v238, v[96:99] offset:48
	ds_store_b128 v238, v[100:103] offset:96
	;; [unrolled: 3-line block ×3, first 2 shown]
	global_wb scope:SCOPE_SE
	s_wait_dscnt 0x0
	s_wait_kmcnt 0x0
	s_barrier_signal -1
	s_barrier_wait -1
	global_inv scope:SCOPE_SE
	s_and_saveexec_b32 s0, vcc_lo
	s_cbranch_execz .LBB0_3
; %bb.2:
	ds_load_b128 v[108:111], v236
	ds_load_b128 v[36:39], v236 offset:144
	ds_load_b128 v[44:47], v236 offset:288
	;; [unrolled: 1-line block ×10, first 2 shown]
.LBB0_3:
	s_wait_alu 0xfffe
	s_or_b32 exec_lo, exec_lo, s0
	v_add_nc_u32_e32 v40, -9, v239
	s_mov_b32 s14, 0xf8bb580b
	s_mov_b32 s15, 0xbfe14ced
	;; [unrolled: 1-line block ×4, first 2 shown]
	v_cndmask_b32_e32 v40, v40, v239, vcc_lo
	s_mov_b32 s20, 0x43842ef
	s_mov_b32 s21, 0xbfefac9e
	;; [unrolled: 1-line block ×4, first 2 shown]
	v_mul_i32_i24_e32 v41, 0xa0, v40
	v_mul_hi_i32_i24_e32 v40, 0xa0, v40
	s_mov_b32 s28, 0xbb3a28a1
	s_mov_b32 s29, 0xbfe82f19
	s_mov_b32 s18, 0x7f775887
	v_add_co_u32 v143, s0, s10, v41
	s_wait_alu 0xf1ff
	v_add_co_ci_u32_e64 v144, s0, s11, v40, s0
	s_mov_b32 s10, 0x8764f0ba
	s_mov_b32 s11, 0x3feaeb8c
	s_mov_b32 s0, 0xd9c712b6
	s_clause 0x1
	global_load_b128 v[64:67], v[143:144], off offset:96
	global_load_b128 v[84:87], v[143:144], off offset:112
	s_mov_b32 s1, 0x3fda9628
	s_mov_b32 s19, 0xbfe4f49e
	;; [unrolled: 1-line block ×11, first 2 shown]
	s_wait_alu 0xfffe
	s_mov_b32 s30, s14
	s_wait_loadcnt_dscnt 0x109
	v_mul_f64_e32 v[40:41], v[38:39], v[66:67]
	s_delay_alu instid0(VALU_DEP_1) | instskip(SKIP_1) | instid1(VALU_DEP_1)
	v_fma_f64 v[167:168], v[36:37], v[64:65], -v[40:41]
	v_mul_f64_e32 v[36:37], v[36:37], v[66:67]
	v_fma_f64 v[169:170], v[38:39], v[64:65], v[36:37]
	s_clause 0x1
	global_load_b128 v[36:39], v[143:144], off offset:240
	global_load_b128 v[40:43], v[143:144], off offset:224
	s_wait_loadcnt_dscnt 0x100
	v_mul_f64_e32 v[118:119], v[88:89], v[38:39]
	s_delay_alu instid0(VALU_DEP_1) | instskip(SKIP_1) | instid1(VALU_DEP_2)
	v_fma_f64 v[193:194], v[90:91], v[36:37], v[118:119]
	v_mul_f64_e32 v[90:91], v[90:91], v[38:39]
	v_add_f64_e64 v[223:224], v[169:170], -v[193:194]
	s_delay_alu instid0(VALU_DEP_2) | instskip(SKIP_2) | instid1(VALU_DEP_4)
	v_fma_f64 v[121:122], v[88:89], v[36:37], -v[90:91]
	v_mul_f64_e32 v[88:89], v[46:47], v[86:87]
	v_add_f64_e32 v[227:228], v[169:170], v[193:194]
	v_mul_f64_e32 v[219:220], s[14:15], v[223:224]
	s_delay_alu instid0(VALU_DEP_4) | instskip(NEXT) | instid1(VALU_DEP_4)
	v_add_f64_e32 v[221:222], v[167:168], v[121:122]
	v_fma_f64 v[129:130], v[44:45], v[84:85], -v[88:89]
	v_mul_f64_e32 v[44:45], v[44:45], v[86:87]
	v_add_f64_e64 v[229:230], v[167:168], -v[121:122]
	v_mul_f64_e32 v[231:232], s[12:13], v[223:224]
	s_delay_alu instid0(VALU_DEP_3) | instskip(SKIP_2) | instid1(VALU_DEP_4)
	v_fma_f64 v[153:154], v[46:47], v[84:85], v[44:45]
	s_wait_loadcnt 0x0
	v_mul_f64_e32 v[44:45], v[52:53], v[42:43]
	v_mul_f64_e32 v[225:226], s[14:15], v[229:230]
	;; [unrolled: 1-line block ×3, first 2 shown]
	s_delay_alu instid0(VALU_DEP_3) | instskip(SKIP_1) | instid1(VALU_DEP_2)
	v_fma_f64 v[123:124], v[54:55], v[40:41], v[44:45]
	v_mul_f64_e32 v[44:45], v[54:55], v[42:43]
	v_add_f64_e64 v[163:164], v[153:154], -v[123:124]
	s_delay_alu instid0(VALU_DEP_2)
	v_fma_f64 v[125:126], v[52:53], v[40:41], -v[44:45]
	s_clause 0x1
	global_load_b128 v[44:47], v[143:144], off offset:128
	global_load_b128 v[88:91], v[143:144], off offset:144
	v_add_f64_e32 v[155:156], v[153:154], v[123:124]
	v_mul_f64_e32 v[127:128], s[12:13], v[163:164]
	v_add_f64_e32 v[151:152], v[129:130], v[125:126]
	v_add_f64_e64 v[165:166], v[129:130], -v[125:126]
	v_mul_f64_e32 v[203:204], s[28:29], v[163:164]
	s_delay_alu instid0(VALU_DEP_2) | instskip(SKIP_1) | instid1(VALU_DEP_1)
	v_mul_f64_e32 v[157:158], s[12:13], v[165:166]
	v_mul_f64_e32 v[207:208], s[28:29], v[165:166]
	v_fma_f64 v[205:206], v[155:156], s[18:19], -v[207:208]
	s_wait_loadcnt 0x1
	v_mul_f64_e32 v[52:53], v[50:51], v[46:47]
	s_delay_alu instid0(VALU_DEP_1) | instskip(SKIP_1) | instid1(VALU_DEP_1)
	v_fma_f64 v[131:132], v[48:49], v[44:45], -v[52:53]
	v_mul_f64_e32 v[48:49], v[48:49], v[46:47]
	v_fma_f64 v[185:186], v[50:51], v[44:45], v[48:49]
	s_clause 0x1
	global_load_b128 v[48:51], v[143:144], off offset:208
	global_load_b128 v[52:55], v[143:144], off offset:192
	s_wait_loadcnt 0x1
	v_mul_f64_e32 v[135:136], v[112:113], v[50:51]
	s_delay_alu instid0(VALU_DEP_1) | instskip(SKIP_1) | instid1(VALU_DEP_2)
	v_fma_f64 v[135:136], v[114:115], v[48:49], v[135:136]
	v_mul_f64_e32 v[114:115], v[114:115], v[50:51]
	v_add_f64_e64 v[189:190], v[185:186], -v[135:136]
	s_delay_alu instid0(VALU_DEP_2) | instskip(SKIP_2) | instid1(VALU_DEP_4)
	v_fma_f64 v[112:113], v[112:113], v[48:49], -v[114:115]
	v_mul_f64_e32 v[114:115], v[98:99], v[90:91]
	v_add_f64_e32 v[171:172], v[185:186], v[135:136]
	v_mul_f64_e32 v[161:162], s[20:21], v[189:190]
	s_delay_alu instid0(VALU_DEP_4) | instskip(NEXT) | instid1(VALU_DEP_4)
	v_add_f64_e32 v[159:160], v[131:132], v[112:113]
	v_fma_f64 v[139:140], v[96:97], v[88:89], -v[114:115]
	v_mul_f64_e32 v[96:97], v[96:97], v[90:91]
	v_add_f64_e64 v[187:188], v[131:132], -v[112:113]
	s_delay_alu instid0(VALU_DEP_2) | instskip(SKIP_2) | instid1(VALU_DEP_3)
	v_fma_f64 v[181:182], v[98:99], v[88:89], v[96:97]
	s_wait_loadcnt 0x0
	v_mul_f64_e32 v[96:97], v[106:107], v[54:55]
	v_mul_f64_e32 v[173:174], s[20:21], v[187:188]
	;; [unrolled: 1-line block ×3, first 2 shown]
	s_delay_alu instid0(VALU_DEP_3) | instskip(SKIP_1) | instid1(VALU_DEP_2)
	v_fma_f64 v[137:138], v[104:105], v[52:53], -v[96:97]
	v_mul_f64_e32 v[96:97], v[104:105], v[54:55]
	v_add_f64_e32 v[175:176], v[139:140], v[137:138]
	s_delay_alu instid0(VALU_DEP_2)
	v_fma_f64 v[141:142], v[106:107], v[52:53], v[96:97]
	s_clause 0x1
	global_load_b128 v[96:99], v[143:144], off offset:160
	global_load_b128 v[104:107], v[143:144], off offset:176
	v_add_f64_e64 v[195:196], v[139:140], -v[137:138]
	v_add_f64_e64 v[197:198], v[181:182], -v[141:142]
	v_add_f64_e32 v[183:184], v[181:182], v[141:142]
	s_delay_alu instid0(VALU_DEP_3) | instskip(SKIP_1) | instid1(VALU_DEP_4)
	v_mul_f64_e32 v[0:1], s[28:29], v[195:196]
	v_mul_f64_e32 v[215:216], s[34:35], v[195:196]
	v_mul_f64_e32 v[177:178], s[28:29], v[197:198]
	s_wait_loadcnt 0x1
	v_mul_f64_e32 v[143:144], v[102:103], v[98:99]
	s_delay_alu instid0(VALU_DEP_1) | instskip(SKIP_1) | instid1(VALU_DEP_1)
	v_fma_f64 v[145:146], v[100:101], v[96:97], -v[143:144]
	v_mul_f64_e32 v[100:101], v[100:101], v[98:99]
	v_fma_f64 v[147:148], v[102:103], v[96:97], v[100:101]
	s_wait_loadcnt 0x0
	v_mul_f64_e32 v[100:101], v[94:95], v[106:107]
	v_fma_f64 v[102:103], v[151:152], s[18:19], v[203:204]
	s_delay_alu instid0(VALU_DEP_2) | instskip(SKIP_2) | instid1(VALU_DEP_3)
	v_fma_f64 v[143:144], v[92:93], v[104:105], -v[100:101]
	v_mul_f64_e32 v[92:93], v[92:93], v[106:107]
	v_fma_f64 v[100:101], v[155:156], s[0:1], -v[157:158]
	v_add_f64_e32 v[179:180], v[145:146], v[143:144]
	s_delay_alu instid0(VALU_DEP_3) | instskip(SKIP_3) | instid1(VALU_DEP_4)
	v_fma_f64 v[149:150], v[94:95], v[104:105], v[92:93]
	v_fma_f64 v[92:93], v[221:222], s[10:11], v[219:220]
	;; [unrolled: 1-line block ×3, first 2 shown]
	v_add_f64_e64 v[199:200], v[145:146], -v[143:144]
	v_add_f64_e64 v[201:202], v[147:148], -v[149:150]
	s_delay_alu instid0(VALU_DEP_4) | instskip(SKIP_1) | instid1(VALU_DEP_4)
	v_add_f64_e32 v[92:93], v[108:109], v[92:93]
	v_add_f64_e32 v[191:192], v[147:148], v[149:150]
	v_mul_f64_e32 v[4:5], s[24:25], v[199:200]
	s_delay_alu instid0(VALU_DEP_4) | instskip(NEXT) | instid1(VALU_DEP_4)
	v_mul_f64_e32 v[2:3], s[24:25], v[201:202]
	v_add_f64_e32 v[92:93], v[94:95], v[92:93]
	v_fma_f64 v[94:95], v[227:228], s[10:11], -v[225:226]
	s_delay_alu instid0(VALU_DEP_1) | instskip(NEXT) | instid1(VALU_DEP_1)
	v_add_f64_e32 v[94:95], v[110:111], v[94:95]
	v_add_f64_e32 v[94:95], v[100:101], v[94:95]
	v_fma_f64 v[100:101], v[159:160], s[16:17], v[161:162]
	s_delay_alu instid0(VALU_DEP_1) | instskip(SKIP_1) | instid1(VALU_DEP_1)
	v_add_f64_e32 v[92:93], v[100:101], v[92:93]
	v_fma_f64 v[100:101], v[171:172], s[16:17], -v[173:174]
	v_add_f64_e32 v[94:95], v[100:101], v[94:95]
	v_fma_f64 v[100:101], v[175:176], s[18:19], v[177:178]
	s_delay_alu instid0(VALU_DEP_1) | instskip(SKIP_1) | instid1(VALU_DEP_1)
	v_add_f64_e32 v[92:93], v[100:101], v[92:93]
	v_fma_f64 v[100:101], v[183:184], s[18:19], -v[0:1]
	;; [unrolled: 5-line block ×3, first 2 shown]
	v_add_f64_e32 v[94:95], v[100:101], v[94:95]
	v_fma_f64 v[100:101], v[221:222], s[0:1], v[231:232]
	s_delay_alu instid0(VALU_DEP_1) | instskip(NEXT) | instid1(VALU_DEP_1)
	v_add_f64_e32 v[100:101], v[108:109], v[100:101]
	v_add_f64_e32 v[100:101], v[102:103], v[100:101]
	v_fma_f64 v[102:103], v[227:228], s[0:1], -v[233:234]
	s_delay_alu instid0(VALU_DEP_1) | instskip(NEXT) | instid1(VALU_DEP_1)
	v_add_f64_e32 v[102:103], v[110:111], v[102:103]
	v_add_f64_e32 v[102:103], v[205:206], v[102:103]
	v_mul_f64_e32 v[205:206], s[26:27], v[189:190]
	s_delay_alu instid0(VALU_DEP_1) | instskip(NEXT) | instid1(VALU_DEP_1)
	v_fma_f64 v[209:210], v[159:160], s[22:23], v[205:206]
	v_add_f64_e32 v[100:101], v[209:210], v[100:101]
	v_fma_f64 v[209:210], v[171:172], s[22:23], -v[213:214]
	s_delay_alu instid0(VALU_DEP_1) | instskip(SKIP_1) | instid1(VALU_DEP_1)
	v_add_f64_e32 v[102:103], v[209:210], v[102:103]
	v_mul_f64_e32 v[209:210], s[34:35], v[197:198]
	v_fma_f64 v[211:212], v[175:176], s[16:17], v[209:210]
	s_delay_alu instid0(VALU_DEP_1) | instskip(SKIP_1) | instid1(VALU_DEP_1)
	v_add_f64_e32 v[100:101], v[211:212], v[100:101]
	v_fma_f64 v[211:212], v[183:184], s[16:17], -v[215:216]
	v_add_f64_e32 v[102:103], v[211:212], v[102:103]
	v_mul_f64_e32 v[211:212], s[30:31], v[201:202]
	s_delay_alu instid0(VALU_DEP_1) | instskip(NEXT) | instid1(VALU_DEP_1)
	v_fma_f64 v[217:218], v[179:180], s[10:11], v[211:212]
	v_add_f64_e32 v[100:101], v[217:218], v[100:101]
	v_mul_f64_e32 v[217:218], s[30:31], v[199:200]
	s_delay_alu instid0(VALU_DEP_1) | instskip(NEXT) | instid1(VALU_DEP_1)
	v_fma_f64 v[244:245], v[191:192], s[10:11], -v[217:218]
	v_add_f64_e32 v[102:103], v[244:245], v[102:103]
	s_and_saveexec_b32 s33, vcc_lo
	s_cbranch_execz .LBB0_5
; %bb.4:
	v_mul_f64_e32 v[244:245], s[0:1], v[227:228]
	s_clause 0x1
	scratch_store_b64 off, v[2:3], off offset:40
	scratch_store_b64 off, v[4:5], off offset:48
	v_dual_mov_b32 v2, v246 :: v_dual_mov_b32 v3, v247
	v_dual_mov_b32 v6, v250 :: v_dual_mov_b32 v7, v251
	;; [unrolled: 1-line block ×3, first 2 shown]
	v_mul_f64_e32 v[248:249], s[18:19], v[227:228]
	v_dual_mov_b32 v8, v252 :: v_dual_mov_b32 v9, v253
	v_mul_f64_e32 v[252:253], s[16:17], v[227:228]
	s_mov_b32 s37, 0x3fe82f19
	s_mov_b32 s36, s28
	s_clause 0x2
	scratch_store_b32 off, v237, off offset:16
	scratch_store_b32 off, v238, off offset:20
	scratch_store_b64 off, v[121:122], off offset:24
	v_dual_mov_b32 v121, v240 :: v_dual_mov_b32 v122, v241
	v_add_f64_e32 v[10:11], v[110:111], v[169:170]
	scratch_store_b64 off, v[123:124], off offset:32 ; 8-byte Folded Spill
	v_dual_mov_b32 v124, v243 :: v_dual_mov_b32 v243, v235
	v_mov_b32_e32 v235, v239
	v_mov_b32_e32 v123, v242
	s_mov_b32 s39, 0x3fed1bb4
	s_mov_b32 s38, s12
	v_mov_b32_e32 v133, v161
	v_mul_f64_e32 v[118:119], s[20:21], v[201:202]
	v_dual_mov_b32 v114, v181 :: v_dual_mov_b32 v115, v182
	v_dual_mov_b32 v182, v132 :: v_dual_mov_b32 v181, v131
	;; [unrolled: 1-line block ×3, first 2 shown]
	v_mul_f64_e32 v[161:162], s[16:17], v[191:192]
	v_mov_b32_e32 v132, v158
	v_add_f64_e32 v[233:234], v[233:234], v[244:245]
	v_mul_f64_e32 v[244:245], s[0:1], v[221:222]
	v_fma_f64 v[250:251], v[229:230], s[36:37], v[248:249]
	v_fma_f64 v[248:249], v[229:230], s[28:29], v[248:249]
	;; [unrolled: 1-line block ×3, first 2 shown]
	scratch_store_b64 off, v[10:11], off offset:56 ; 8-byte Folded Spill
	v_add_f64_e32 v[10:11], v[108:109], v[167:168]
	v_add_f64_e32 v[233:234], v[110:111], v[233:234]
	v_add_f64_e64 v[231:232], v[244:245], -v[231:232]
	v_mul_f64_e32 v[244:245], s[22:23], v[227:228]
	v_mul_f64_e32 v[227:228], s[10:11], v[227:228]
	scratch_store_b64 off, v[10:11], off offset:64 ; 8-byte Folded Spill
	v_dual_mov_b32 v10, v112 :: v_dual_mov_b32 v11, v113
	v_dual_mov_b32 v112, v135 :: v_dual_mov_b32 v113, v136
	v_dual_mov_b32 v135, v153 :: v_dual_mov_b32 v136, v154
	v_add_f64_e32 v[231:232], v[108:109], v[231:232]
	v_fma_f64 v[246:247], v[229:230], s[26:27], v[244:245]
	v_fma_f64 v[244:245], v[229:230], s[24:25], v[244:245]
	;; [unrolled: 1-line block ×3, first 2 shown]
	v_add_f64_e32 v[225:226], v[225:226], v[227:228]
	v_mul_f64_e32 v[227:228], s[24:25], v[223:224]
	v_mul_f64_e32 v[252:253], s[28:29], v[223:224]
	;; [unrolled: 1-line block ×3, first 2 shown]
	v_add_f64_e32 v[167:168], v[110:111], v[246:247]
	v_add_f64_e32 v[246:247], v[110:111], v[248:249]
	;; [unrolled: 1-line block ×4, first 2 shown]
	v_fma_f64 v[237:238], v[221:222], s[22:23], v[227:228]
	v_fma_f64 v[227:228], v[221:222], s[22:23], -v[227:228]
	v_fma_f64 v[239:240], v[221:222], s[18:19], -v[252:253]
	v_fma_f64 v[252:253], v[221:222], s[18:19], v[252:253]
	v_fma_f64 v[241:242], v[221:222], s[16:17], -v[223:224]
	v_fma_f64 v[223:224], v[221:222], s[16:17], v[223:224]
	v_mul_f64_e32 v[221:222], s[10:11], v[221:222]
	v_add_f64_e32 v[225:226], v[110:111], v[225:226]
	v_add_f64_e32 v[169:170], v[108:109], v[237:238]
	;; [unrolled: 1-line block ×5, first 2 shown]
	v_mul_f64_e32 v[252:253], s[10:11], v[155:156]
	v_add_f64_e32 v[227:228], v[108:109], v[227:228]
	v_add_f64_e64 v[219:220], v[221:222], -v[219:220]
	v_add_f64_e32 v[241:242], v[108:109], v[241:242]
	v_add_f64_e32 v[239:240], v[108:109], v[239:240]
	;; [unrolled: 1-line block ×3, first 2 shown]
	s_delay_alu instid0(VALU_DEP_4) | instskip(SKIP_1) | instid1(VALU_DEP_1)
	v_add_f64_e32 v[219:220], v[108:109], v[219:220]
	v_fma_f64 v[108:109], v[165:166], s[14:15], v[252:253]
	v_add_f64_e32 v[108:109], v[108:109], v[167:168]
	v_mul_f64_e32 v[167:168], s[30:31], v[163:164]
	s_delay_alu instid0(VALU_DEP_1) | instskip(SKIP_1) | instid1(VALU_DEP_2)
	v_fma_f64 v[110:111], v[151:152], s[10:11], v[167:168]
	v_fma_f64 v[167:168], v[151:152], s[10:11], -v[167:168]
	v_add_f64_e32 v[110:111], v[110:111], v[169:170]
	v_mul_f64_e32 v[169:170], s[18:19], v[171:172]
	s_delay_alu instid0(VALU_DEP_3) | instskip(SKIP_1) | instid1(VALU_DEP_3)
	v_add_f64_e32 v[167:168], v[167:168], v[227:228]
	v_mul_f64_e32 v[227:228], s[38:39], v[189:190]
	v_fma_f64 v[254:255], v[187:188], s[36:37], v[169:170]
	v_fma_f64 v[169:170], v[187:188], s[28:29], v[169:170]
	s_delay_alu instid0(VALU_DEP_2) | instskip(SKIP_2) | instid1(VALU_DEP_2)
	v_add_f64_e32 v[108:109], v[254:255], v[108:109]
	v_mul_f64_e32 v[254:255], s[28:29], v[189:190]
	v_mul_f64_e32 v[189:190], s[14:15], v[189:190]
	v_fma_f64 v[221:222], v[159:160], s[18:19], v[254:255]
	s_delay_alu instid0(VALU_DEP_1) | instskip(SKIP_1) | instid1(VALU_DEP_1)
	v_add_f64_e32 v[110:111], v[221:222], v[110:111]
	v_mul_f64_e32 v[221:222], s[0:1], v[183:184]
	v_fma_f64 v[153:154], v[195:196], s[12:13], v[221:222]
	s_delay_alu instid0(VALU_DEP_1) | instskip(SKIP_1) | instid1(VALU_DEP_1)
	v_add_f64_e32 v[108:109], v[153:154], v[108:109]
	v_mul_f64_e32 v[153:154], s[38:39], v[197:198]
	v_fma_f64 v[157:158], v[175:176], s[0:1], v[153:154]
	v_fma_f64 v[153:154], v[175:176], s[0:1], -v[153:154]
	s_delay_alu instid0(VALU_DEP_2) | instskip(SKIP_2) | instid1(VALU_DEP_2)
	v_add_f64_e32 v[157:158], v[157:158], v[110:111]
	v_fma_f64 v[110:111], v[199:200], s[34:35], v[161:162]
	v_fma_f64 v[161:162], v[199:200], s[20:21], v[161:162]
	v_add_f64_e32 v[110:111], v[110:111], v[108:109]
	v_fma_f64 v[108:109], v[179:180], s[16:17], v[118:119]
	v_fma_f64 v[118:119], v[179:180], s[16:17], -v[118:119]
	s_delay_alu instid0(VALU_DEP_2) | instskip(SKIP_1) | instid1(VALU_DEP_1)
	v_add_f64_e32 v[108:109], v[108:109], v[157:158]
	v_fma_f64 v[157:158], v[165:166], s[30:31], v[252:253]
	v_add_f64_e32 v[157:158], v[157:158], v[237:238]
	v_mul_f64_e32 v[237:238], s[18:19], v[191:192]
	s_delay_alu instid0(VALU_DEP_2) | instskip(SKIP_1) | instid1(VALU_DEP_1)
	v_add_f64_e32 v[157:158], v[169:170], v[157:158]
	v_fma_f64 v[169:170], v[159:160], s[18:19], -v[254:255]
	v_add_f64_e32 v[167:168], v[169:170], v[167:168]
	v_fma_f64 v[169:170], v[195:196], s[38:39], v[221:222]
	v_mul_f64_e32 v[221:222], s[0:1], v[171:172]
	s_delay_alu instid0(VALU_DEP_3) | instskip(NEXT) | instid1(VALU_DEP_3)
	v_add_f64_e32 v[153:154], v[153:154], v[167:168]
	v_add_f64_e32 v[157:158], v[169:170], v[157:158]
	s_delay_alu instid0(VALU_DEP_2) | instskip(SKIP_1) | instid1(VALU_DEP_3)
	v_add_f64_e32 v[167:168], v[118:119], v[153:154]
	v_mul_f64_e32 v[118:119], s[18:19], v[155:156]
	v_add_f64_e32 v[169:170], v[161:162], v[157:158]
	v_mul_f64_e32 v[153:154], s[18:19], v[151:152]
	v_mul_f64_e32 v[157:158], s[22:23], v[171:172]
	;; [unrolled: 1-line block ×3, first 2 shown]
	v_add_f64_e32 v[118:119], v[207:208], v[118:119]
	v_mul_f64_e32 v[207:208], s[10:11], v[191:192]
	v_add_f64_e64 v[153:154], v[153:154], -v[203:204]
	v_add_f64_e32 v[157:158], v[213:214], v[157:158]
	v_mul_f64_e32 v[203:204], s[16:17], v[183:184]
	v_add_f64_e64 v[161:162], v[161:162], -v[205:206]
	v_mul_f64_e32 v[205:206], s[16:17], v[175:176]
	v_add_f64_e32 v[118:119], v[118:119], v[233:234]
	v_add_f64_e32 v[207:208], v[217:218], v[207:208]
	;; [unrolled: 1-line block ×3, first 2 shown]
	v_mul_f64_e32 v[231:232], s[10:11], v[183:184]
	v_add_f64_e32 v[203:204], v[215:216], v[203:204]
	v_mul_f64_e32 v[233:234], s[14:15], v[197:198]
	v_add_f64_e64 v[205:206], v[205:206], -v[209:210]
	v_mul_f64_e32 v[215:216], s[10:11], v[171:172]
	v_mul_f64_e32 v[197:198], s[24:25], v[197:198]
	v_add_f64_e32 v[118:119], v[157:158], v[118:119]
	v_mul_f64_e32 v[157:158], s[10:11], v[179:180]
	v_add_f64_e32 v[153:154], v[161:162], v[153:154]
	v_fma_f64 v[217:218], v[187:188], s[14:15], v[215:216]
	v_fma_f64 v[215:216], v[187:188], s[30:31], v[215:216]
	v_add_f64_e32 v[118:119], v[203:204], v[118:119]
	v_add_f64_e64 v[157:158], v[157:158], -v[211:212]
	v_add_f64_e32 v[153:154], v[205:206], v[153:154]
	s_delay_alu instid0(VALU_DEP_3) | instskip(SKIP_1) | instid1(VALU_DEP_3)
	v_add_f64_e32 v[205:206], v[207:208], v[118:119]
	v_mul_f64_e32 v[118:119], s[22:23], v[155:156]
	v_add_f64_e32 v[203:204], v[157:158], v[153:154]
	v_mul_f64_e32 v[157:158], s[26:27], v[163:164]
	v_fma_f64 v[207:208], v[187:188], s[38:39], v[221:222]
	v_mul_f64_e32 v[163:164], s[34:35], v[163:164]
	v_fma_f64 v[153:154], v[165:166], s[26:27], v[118:119]
	v_fma_f64 v[118:119], v[165:166], s[24:25], v[118:119]
	v_fma_f64 v[161:162], v[151:152], s[22:23], -v[157:158]
	v_fma_f64 v[157:158], v[151:152], s[22:23], v[157:158]
	v_fma_f64 v[213:214], v[151:152], s[16:17], -v[163:164]
	v_fma_f64 v[163:164], v[151:152], s[16:17], v[163:164]
	v_mul_f64_e32 v[151:152], s[0:1], v[151:152]
	v_add_f64_e32 v[153:154], v[153:154], v[248:249]
	v_add_f64_e32 v[118:119], v[118:119], v[229:230]
	;; [unrolled: 1-line block ×3, first 2 shown]
	v_mul_f64_e32 v[241:242], s[0:1], v[191:192]
	v_add_f64_e32 v[213:214], v[213:214], v[239:240]
	v_add_f64_e32 v[163:164], v[163:164], v[250:251]
	;; [unrolled: 1-line block ×3, first 2 shown]
	v_add_f64_e64 v[151:152], v[151:152], -v[127:128]
	v_mov_b32_e32 v253, v9
	v_dual_mov_b32 v251, v7 :: v_dual_mov_b32 v252, v8
	v_mov_b32_e32 v250, v6
	v_add_f64_e32 v[153:154], v[207:208], v[153:154]
	v_fma_f64 v[207:208], v[159:160], s[0:1], -v[227:228]
	v_add_f64_e32 v[151:152], v[151:152], v[219:220]
	s_delay_alu instid0(VALU_DEP_2) | instskip(SKIP_1) | instid1(VALU_DEP_1)
	v_add_f64_e32 v[161:162], v[207:208], v[161:162]
	v_fma_f64 v[207:208], v[195:196], s[14:15], v[231:232]
	v_add_f64_e32 v[153:154], v[207:208], v[153:154]
	v_fma_f64 v[207:208], v[175:176], s[10:11], -v[233:234]
	s_delay_alu instid0(VALU_DEP_1) | instskip(SKIP_1) | instid1(VALU_DEP_1)
	v_add_f64_e32 v[161:162], v[207:208], v[161:162]
	v_fma_f64 v[207:208], v[199:200], s[28:29], v[237:238]
	v_add_f64_e32 v[209:210], v[207:208], v[153:154]
	v_mul_f64_e32 v[153:154], s[28:29], v[201:202]
	v_mul_f64_e32 v[201:202], s[38:39], v[201:202]
	s_delay_alu instid0(VALU_DEP_2) | instskip(SKIP_1) | instid1(VALU_DEP_2)
	v_fma_f64 v[207:208], v[179:180], s[18:19], -v[153:154]
	v_fma_f64 v[153:154], v[179:180], s[18:19], v[153:154]
	v_add_f64_e32 v[207:208], v[207:208], v[161:162]
	v_mul_f64_e32 v[161:162], s[16:17], v[155:156]
	s_delay_alu instid0(VALU_DEP_1)
	v_fma_f64 v[211:212], v[165:166], s[34:35], v[161:162]
	v_fma_f64 v[161:162], v[165:166], s[20:21], v[161:162]
	v_fma_f64 v[165:166], v[199:200], s[36:37], v[237:238]
	s_clause 0x1
	scratch_load_b32 v238, off, off offset:20
	scratch_load_b32 v237, off, off offset:16
	v_add_f64_e32 v[211:212], v[211:212], v[246:247]
	v_add_f64_e32 v[161:162], v[161:162], v[244:245]
	v_dual_mov_b32 v249, v5 :: v_dual_mov_b32 v248, v4
	v_dual_mov_b32 v246, v2 :: v_dual_mov_b32 v247, v3
	s_delay_alu instid0(VALU_DEP_4) | instskip(SKIP_3) | instid1(VALU_DEP_3)
	v_add_f64_e32 v[211:212], v[217:218], v[211:212]
	v_fma_f64 v[217:218], v[159:160], s[10:11], -v[189:190]
	v_fma_f64 v[189:190], v[159:160], s[10:11], v[189:190]
	v_add_f64_e32 v[161:162], v[215:216], v[161:162]
	v_add_f64_e32 v[213:214], v[217:218], v[213:214]
	v_mul_f64_e32 v[217:218], s[22:23], v[183:184]
	s_delay_alu instid0(VALU_DEP_4) | instskip(NEXT) | instid1(VALU_DEP_2)
	v_add_f64_e32 v[163:164], v[189:190], v[163:164]
	v_fma_f64 v[189:190], v[195:196], s[26:27], v[217:218]
	v_fma_f64 v[239:240], v[195:196], s[24:25], v[217:218]
	s_delay_alu instid0(VALU_DEP_2) | instskip(SKIP_1) | instid1(VALU_DEP_3)
	v_add_f64_e32 v[161:162], v[189:190], v[161:162]
	v_fma_f64 v[189:190], v[175:176], s[22:23], v[197:198]
	v_add_f64_e32 v[211:212], v[239:240], v[211:212]
	v_fma_f64 v[239:240], v[175:176], s[22:23], -v[197:198]
	v_fma_f64 v[197:198], v[179:180], s[0:1], v[201:202]
	s_delay_alu instid0(VALU_DEP_4) | instskip(SKIP_1) | instid1(VALU_DEP_4)
	v_add_f64_e32 v[163:164], v[189:190], v[163:164]
	v_fma_f64 v[189:190], v[199:200], s[12:13], v[241:242]
	v_add_f64_e32 v[239:240], v[239:240], v[213:214]
	v_fma_f64 v[213:214], v[199:200], s[38:39], v[241:242]
	v_dual_mov_b32 v242, v123 :: v_dual_mov_b32 v241, v122
	v_add_f64_e32 v[215:216], v[197:198], v[163:164]
	v_add_f64_e32 v[217:218], v[189:190], v[161:162]
	v_fma_f64 v[161:162], v[187:188], s[12:13], v[221:222]
	v_fma_f64 v[163:164], v[195:196], s[30:31], v[231:232]
	v_add_f64_e32 v[213:214], v[213:214], v[211:212]
	v_fma_f64 v[211:212], v[179:180], s[0:1], -v[201:202]
	s_delay_alu instid0(VALU_DEP_4) | instskip(SKIP_1) | instid1(VALU_DEP_3)
	v_add_f64_e32 v[118:119], v[161:162], v[118:119]
	v_fma_f64 v[161:162], v[159:160], s[0:1], v[227:228]
	v_add_f64_e32 v[211:212], v[211:212], v[239:240]
	v_mov_b32_e32 v239, v235
	v_dual_mov_b32 v235, v243 :: v_dual_mov_b32 v240, v121
	v_mov_b32_e32 v243, v124
	v_add_f64_e32 v[118:119], v[163:164], v[118:119]
	v_add_f64_e32 v[157:158], v[161:162], v[157:158]
	v_fma_f64 v[161:162], v[175:176], s[10:11], v[233:234]
	s_delay_alu instid0(VALU_DEP_3) | instskip(SKIP_1) | instid1(VALU_DEP_3)
	v_add_f64_e32 v[165:166], v[165:166], v[118:119]
	v_mul_f64_e32 v[118:119], s[0:1], v[155:156]
	v_add_f64_e32 v[157:158], v[161:162], v[157:158]
	v_mul_f64_e32 v[161:162], s[22:23], v[191:192]
	v_mul_f64_e32 v[155:156], s[16:17], v[159:160]
	;; [unrolled: 1-line block ×3, first 2 shown]
	v_add_f64_e32 v[118:119], v[131:132], v[118:119]
	v_add_f64_e32 v[163:164], v[153:154], v[157:158]
	v_mul_f64_e32 v[157:158], s[18:19], v[183:184]
	v_mul_f64_e32 v[153:154], s[16:17], v[171:172]
	v_add_f64_e64 v[155:156], v[155:156], -v[133:134]
	v_add_f64_e64 v[159:160], v[159:160], -v[177:178]
	v_add_f64_e32 v[118:119], v[118:119], v[225:226]
	v_add_f64_e32 v[157:158], v[0:1], v[157:158]
	scratch_load_b64 v[0:1], off, off offset:48 th:TH_LOAD_LU ; 8-byte Folded Reload
	v_add_f64_e32 v[153:154], v[173:174], v[153:154]
	v_add_f64_e32 v[151:152], v[155:156], v[151:152]
	s_delay_alu instid0(VALU_DEP_2) | instskip(SKIP_1) | instid1(VALU_DEP_3)
	v_add_f64_e32 v[118:119], v[153:154], v[118:119]
	v_mul_f64_e32 v[153:154], s[22:23], v[179:180]
	v_add_f64_e32 v[151:152], v[159:160], v[151:152]
	s_delay_alu instid0(VALU_DEP_3)
	v_add_f64_e32 v[118:119], v[157:158], v[118:119]
	s_wait_loadcnt 0x0
	v_add_f64_e32 v[161:162], v[0:1], v[161:162]
	scratch_load_b64 v[0:1], off, off offset:40 th:TH_LOAD_LU ; 8-byte Folded Reload
	s_wait_loadcnt 0x0
	v_add_f64_e64 v[155:156], v[153:154], -v[0:1]
	scratch_load_b64 v[0:1], off, off offset:56 th:TH_LOAD_LU ; 8-byte Folded Reload
	v_add_f64_e32 v[153:154], v[161:162], v[118:119]
	v_add_f64_e32 v[151:152], v[155:156], v[151:152]
	s_wait_loadcnt 0x0
	v_add_f64_e32 v[118:119], v[0:1], v[135:136]
	scratch_load_b64 v[0:1], off, off offset:64 th:TH_LOAD_LU ; 8-byte Folded Reload
	v_add_f64_e32 v[118:119], v[118:119], v[185:186]
	s_delay_alu instid0(VALU_DEP_1) | instskip(NEXT) | instid1(VALU_DEP_1)
	v_add_f64_e32 v[118:119], v[118:119], v[114:115]
	v_add_f64_e32 v[118:119], v[118:119], v[147:148]
	s_delay_alu instid0(VALU_DEP_1) | instskip(NEXT) | instid1(VALU_DEP_1)
	v_add_f64_e32 v[118:119], v[118:119], v[149:150]
	v_add_f64_e32 v[118:119], v[118:119], v[141:142]
	s_delay_alu instid0(VALU_DEP_1) | instskip(SKIP_4) | instid1(VALU_DEP_1)
	v_add_f64_e32 v[118:119], v[118:119], v[112:113]
	s_wait_loadcnt 0x0
	v_add_f64_e32 v[127:128], v[0:1], v[129:130]
	scratch_load_b64 v[0:1], off, off offset:32 th:TH_LOAD_LU ; 8-byte Folded Reload
	v_add_f64_e32 v[127:128], v[127:128], v[181:182]
	v_add_f64_e32 v[127:128], v[127:128], v[139:140]
	s_delay_alu instid0(VALU_DEP_1) | instskip(NEXT) | instid1(VALU_DEP_1)
	v_add_f64_e32 v[127:128], v[127:128], v[145:146]
	v_add_f64_e32 v[127:128], v[127:128], v[143:144]
	s_delay_alu instid0(VALU_DEP_1) | instskip(NEXT) | instid1(VALU_DEP_1)
	v_add_f64_e32 v[114:115], v[127:128], v[137:138]
	v_add_f64_e32 v[112:113], v[114:115], v[10:11]
	s_delay_alu instid0(VALU_DEP_1)
	v_add_f64_e32 v[112:113], v[112:113], v[125:126]
	s_wait_loadcnt 0x0
	v_add_f64_e32 v[114:115], v[118:119], v[0:1]
	scratch_load_b64 v[0:1], off, off offset:24 th:TH_LOAD_LU ; 8-byte Folded Reload
	v_lshl_add_u32 v118, v239, 4, v235
	v_add_f64_e32 v[114:115], v[114:115], v[193:194]
	s_wait_loadcnt 0x0
	v_add_f64_e32 v[112:113], v[112:113], v[0:1]
	ds_store_b128 v118, v[203:206] offset:288
	ds_store_b128 v118, v[207:210] offset:432
	;; [unrolled: 1-line block ×9, first 2 shown]
	ds_store_b128 v236, v[112:115]
	ds_store_b128 v118, v[92:95] offset:1440
.LBB0_5:
	s_or_b32 exec_lo, exec_lo, s33
	v_lshlrev_b32_e32 v141, 4, v239
	s_add_nc_u64 s[0:1], s[8:9], 0x630
	global_wb scope:SCOPE_SE
	s_wait_storecnt_dscnt 0x0
	s_barrier_signal -1
	s_barrier_wait -1
	global_inv scope:SCOPE_SE
	s_clause 0x8
	global_load_b128 v[108:111], v[116:117], off offset:1584
	global_load_b128 v[112:115], v141, s[0:1] offset:528
	global_load_b128 v[116:119], v141, s[0:1] offset:1056
	;; [unrolled: 1-line block ×8, first 2 shown]
	ds_load_b128 v[145:148], v236
	ds_load_b128 v[149:152], v236 offset:528
	ds_load_b128 v[153:156], v236 offset:1056
	;; [unrolled: 1-line block ×8, first 2 shown]
	s_mov_b32 s0, 0xe8584caa
	s_mov_b32 s1, 0xbfebb67a
	;; [unrolled: 1-line block ×3, first 2 shown]
	s_wait_alu 0xfffe
	s_mov_b32 s8, s0
	s_wait_loadcnt_dscnt 0x808
	v_mul_f64_e32 v[181:182], v[147:148], v[110:111]
	v_mul_f64_e32 v[110:111], v[145:146], v[110:111]
	s_wait_loadcnt_dscnt 0x707
	v_mul_f64_e32 v[183:184], v[151:152], v[114:115]
	v_mul_f64_e32 v[114:115], v[149:150], v[114:115]
	;; [unrolled: 3-line block ×9, first 2 shown]
	v_fma_f64 v[143:144], v[145:146], v[108:109], -v[181:182]
	v_fma_f64 v[145:146], v[147:148], v[108:109], v[110:111]
	v_fma_f64 v[108:109], v[149:150], v[112:113], -v[183:184]
	v_fma_f64 v[110:111], v[151:152], v[112:113], v[114:115]
	;; [unrolled: 2-line block ×9, first 2 shown]
	ds_store_b128 v236, v[143:146]
	ds_store_b128 v236, v[116:119] offset:176
	ds_store_b128 v236, v[112:115] offset:1056
	;; [unrolled: 1-line block ×8, first 2 shown]
	global_wb scope:SCOPE_SE
	s_wait_dscnt 0x0
	s_barrier_signal -1
	s_barrier_wait -1
	global_inv scope:SCOPE_SE
	ds_load_b128 v[108:111], v236 offset:528
	ds_load_b128 v[112:115], v236 offset:1056
	;; [unrolled: 1-line block ×7, first 2 shown]
	ds_load_b128 v[137:140], v236
	ds_load_b128 v[141:144], v236 offset:176
	global_wb scope:SCOPE_SE
	s_wait_dscnt 0x0
	s_barrier_signal -1
	s_barrier_wait -1
	global_inv scope:SCOPE_SE
	v_add_f64_e32 v[145:146], v[108:109], v[112:113]
	v_add_f64_e32 v[147:148], v[110:111], v[114:115]
	;; [unrolled: 1-line block ×7, first 2 shown]
	v_add_f64_e64 v[159:160], v[110:111], -v[114:115]
	v_add_f64_e32 v[110:111], v[139:140], v[110:111]
	v_add_f64_e32 v[161:162], v[141:142], v[121:122]
	;; [unrolled: 1-line block ×5, first 2 shown]
	v_add_f64_e64 v[169:170], v[125:126], -v[129:130]
	v_fma_f64 v[137:138], v[145:146], -0.5, v[137:138]
	v_add_f64_e64 v[145:146], v[108:109], -v[112:113]
	v_fma_f64 v[139:140], v[147:148], -0.5, v[139:140]
	;; [unrolled: 2-line block ×5, first 2 shown]
	v_fma_f64 v[155:156], v[155:156], -0.5, v[135:136]
	v_add_f64_e32 v[108:109], v[157:158], v[112:113]
	v_add_f64_e32 v[110:111], v[110:111], v[114:115]
	;; [unrolled: 1-line block ×6, first 2 shown]
	v_fma_f64 v[121:122], v[159:160], s[0:1], v[137:138]
	s_wait_alu 0xfffe
	v_fma_f64 v[125:126], v[159:160], s[8:9], v[137:138]
	v_fma_f64 v[123:124], v[145:146], s[8:9], v[139:140]
	;; [unrolled: 1-line block ×11, first 2 shown]
	ds_store_b128 v243, v[108:111]
	ds_store_b128 v243, v[121:124] offset:16
	ds_store_b128 v243, v[125:128] offset:32
	ds_store_b128 v242, v[112:115]
	ds_store_b128 v242, v[129:132] offset:16
	ds_store_b128 v242, v[133:136] offset:32
	;; [unrolled: 3-line block ×3, first 2 shown]
	global_wb scope:SCOPE_SE
	s_wait_dscnt 0x0
	s_barrier_signal -1
	s_barrier_wait -1
	global_inv scope:SCOPE_SE
	ds_load_b128 v[108:111], v236 offset:528
	ds_load_b128 v[112:115], v236 offset:1056
	;; [unrolled: 1-line block ×7, first 2 shown]
	s_wait_dscnt 0x6
	v_mul_f64_e32 v[137:138], v[74:75], v[110:111]
	s_wait_dscnt 0x5
	v_mul_f64_e32 v[139:140], v[70:71], v[114:115]
	v_mul_f64_e32 v[74:75], v[74:75], v[108:109]
	v_mul_f64_e32 v[70:71], v[70:71], v[112:113]
	s_wait_dscnt 0x4
	v_mul_f64_e32 v[141:142], v[62:63], v[118:119]
	s_wait_dscnt 0x3
	v_mul_f64_e32 v[143:144], v[58:59], v[123:124]
	v_mul_f64_e32 v[62:63], v[62:63], v[116:117]
	v_mul_f64_e32 v[58:59], v[58:59], v[121:122]
	s_wait_dscnt 0x2
	v_mul_f64_e32 v[145:146], v[82:83], v[127:128]
	s_wait_dscnt 0x1
	v_mul_f64_e32 v[147:148], v[78:79], v[131:132]
	v_mul_f64_e32 v[82:83], v[82:83], v[125:126]
	v_mul_f64_e32 v[78:79], v[78:79], v[129:130]
	v_fma_f64 v[108:109], v[72:73], v[108:109], v[137:138]
	v_fma_f64 v[112:113], v[68:69], v[112:113], v[139:140]
	v_fma_f64 v[72:73], v[72:73], v[110:111], -v[74:75]
	v_fma_f64 v[68:69], v[68:69], v[114:115], -v[70:71]
	v_fma_f64 v[70:71], v[60:61], v[116:117], v[141:142]
	v_fma_f64 v[74:75], v[56:57], v[121:122], v[143:144]
	v_fma_f64 v[110:111], v[60:61], v[118:119], -v[62:63]
	v_fma_f64 v[114:115], v[56:57], v[123:124], -v[58:59]
	;; [unrolled: 4-line block ×3, first 2 shown]
	ds_load_b128 v[56:59], v236
	ds_load_b128 v[60:63], v236 offset:176
	global_wb scope:SCOPE_SE
	s_wait_dscnt 0x0
	s_barrier_signal -1
	s_barrier_wait -1
	global_inv scope:SCOPE_SE
	v_add_f64_e32 v[129:130], v[56:57], v[108:109]
	v_add_f64_e32 v[78:79], v[108:109], v[112:113]
	v_add_f64_e64 v[108:109], v[108:109], -v[112:113]
	v_add_f64_e32 v[82:83], v[72:73], v[68:69]
	v_add_f64_e64 v[131:132], v[72:73], -v[68:69]
	v_add_f64_e32 v[121:122], v[70:71], v[74:75]
	v_add_f64_e32 v[72:73], v[58:59], v[72:73]
	;; [unrolled: 1-line block ×9, first 2 shown]
	v_add_f64_e64 v[110:111], v[110:111], -v[114:115]
	v_add_f64_e64 v[70:71], v[70:71], -v[74:75]
	;; [unrolled: 1-line block ×3, first 2 shown]
	v_fma_f64 v[78:79], v[78:79], -0.5, v[56:57]
	v_add_f64_e32 v[56:57], v[129:130], v[112:113]
	v_fma_f64 v[145:146], v[82:83], -0.5, v[58:59]
	v_fma_f64 v[121:122], v[121:122], -0.5, v[60:61]
	v_add_f64_e32 v[58:59], v[72:73], v[68:69]
	v_fma_f64 v[123:124], v[123:124], -0.5, v[62:63]
	v_add_f64_e32 v[60:61], v[137:138], v[74:75]
	v_fma_f64 v[125:126], v[125:126], -0.5, v[133:134]
	v_add_f64_e64 v[133:134], v[116:117], -v[118:119]
	v_fma_f64 v[127:128], v[127:128], -0.5, v[135:136]
	v_add_f64_e32 v[62:63], v[139:140], v[114:115]
	v_add_f64_e32 v[116:117], v[141:142], v[118:119]
	;; [unrolled: 1-line block ×3, first 2 shown]
	v_fma_f64 v[80:81], v[131:132], s[0:1], v[78:79]
	v_fma_f64 v[76:77], v[131:132], s[8:9], v[78:79]
	;; [unrolled: 1-line block ×12, first 2 shown]
	ds_store_b128 v241, v[56:59]
	ds_store_b128 v241, v[80:83] offset:48
	ds_store_b128 v241, v[76:79] offset:96
	ds_store_b128 v238, v[60:63]
	ds_store_b128 v238, v[108:111] offset:48
	ds_store_b128 v238, v[112:115] offset:96
	;; [unrolled: 3-line block ×3, first 2 shown]
	global_wb scope:SCOPE_SE
	s_wait_dscnt 0x0
	s_barrier_signal -1
	s_barrier_wait -1
	global_inv scope:SCOPE_SE
	s_and_saveexec_b32 s0, vcc_lo
	s_cbranch_execz .LBB0_7
; %bb.6:
	ds_load_b128 v[56:59], v236
	ds_load_b128 v[80:83], v236 offset:144
	ds_load_b128 v[76:79], v236 offset:288
	;; [unrolled: 1-line block ×10, first 2 shown]
.LBB0_7:
	s_wait_alu 0xfffe
	s_or_b32 exec_lo, exec_lo, s0
	s_and_saveexec_b32 s16, vcc_lo
	s_cbranch_execz .LBB0_9
; %bb.8:
	s_wait_dscnt 0x9
	v_mul_f64_e32 v[121:122], v[66:67], v[80:81]
	v_mul_f64_e32 v[66:67], v[66:67], v[82:83]
	s_wait_dscnt 0x2
	v_mul_f64_e32 v[133:134], v[50:51], v[74:75]
	v_mul_f64_e32 v[135:136], v[86:87], v[78:79]
	;; [unrolled: 1-line block ×11, first 2 shown]
	s_wait_dscnt 0x0
	v_mul_f64_e32 v[139:140], v[38:39], v[94:95]
	v_mul_f64_e32 v[54:55], v[54:55], v[68:69]
	;; [unrolled: 1-line block ×4, first 2 shown]
	s_mov_b32 s18, 0x43842ef
	s_mov_b32 s22, 0xbb3a28a1
	;; [unrolled: 1-line block ×11, first 2 shown]
	s_wait_alu 0xfffe
	s_mov_b32 s28, s24
	s_mov_b32 s14, 0x640f44db
	;; [unrolled: 1-line block ×10, first 2 shown]
	v_fma_f64 v[82:83], v[64:65], v[82:83], -v[121:122]
	v_fma_f64 v[64:65], v[64:65], v[80:81], v[66:67]
	v_mul_f64_e32 v[66:67], v[46:47], v[60:61]
	v_mul_f64_e32 v[80:81], v[50:51], v[72:73]
	v_fma_f64 v[46:47], v[48:49], v[72:73], v[133:134]
	v_fma_f64 v[72:73], v[84:85], v[76:77], v[135:136]
	v_fma_f64 v[76:77], v[84:85], v[78:79], -v[86:87]
	v_mul_f64_e32 v[121:122], v[42:43], v[100:101]
	v_fma_f64 v[112:113], v[96:97], v[112:113], v[123:124]
	v_fma_f64 v[116:117], v[104:105], v[116:117], v[125:126]
	v_fma_f64 v[96:97], v[96:97], v[114:115], -v[98:99]
	v_fma_f64 v[98:99], v[104:105], v[118:119], -v[106:107]
	v_fma_f64 v[104:105], v[88:89], v[108:109], v[127:128]
	v_fma_f64 v[50:51], v[52:53], v[68:69], v[129:130]
	v_fma_f64 v[68:69], v[88:89], v[110:111], -v[90:91]
	v_fma_f64 v[60:61], v[44:45], v[60:61], v[131:132]
	v_fma_f64 v[38:39], v[36:37], v[92:93], v[139:140]
	v_fma_f64 v[52:53], v[52:53], v[70:71], -v[54:55]
	v_fma_f64 v[36:37], v[36:37], v[94:95], -v[141:142]
	v_fma_f64 v[42:43], v[40:41], v[100:101], v[137:138]
	s_mov_b32 s34, s26
	s_mov_b32 s0, 0xd9c712b6
	s_mov_b32 s1, 0x3fda9628
	v_add_f64_e32 v[78:79], v[58:59], v[82:83]
	v_add_f64_e32 v[84:85], v[56:57], v[64:65]
	v_fma_f64 v[44:45], v[44:45], v[62:63], -v[66:67]
	v_fma_f64 v[48:49], v[48:49], v[74:75], -v[80:81]
	v_fma_f64 v[40:41], v[40:41], v[102:103], -v[121:122]
	v_add_f64_e64 v[54:55], v[112:113], -v[116:117]
	v_add_f64_e32 v[106:107], v[112:113], v[116:117]
	v_add_f64_e32 v[94:95], v[96:97], v[98:99]
	v_add_f64_e64 v[62:63], v[104:105], -v[50:51]
	v_add_f64_e32 v[108:109], v[104:105], v[50:51]
	v_add_f64_e64 v[66:67], v[60:61], -v[46:47]
	v_add_f64_e64 v[74:75], v[64:65], -v[38:39]
	;; [unrolled: 1-line block ×4, first 2 shown]
	v_add_f64_e32 v[110:111], v[60:61], v[46:47]
	v_add_f64_e64 v[70:71], v[72:73], -v[42:43]
	v_add_f64_e32 v[82:83], v[82:83], v[36:37]
	v_add_f64_e32 v[64:65], v[64:65], v[38:39]
	;; [unrolled: 1-line block ×5, first 2 shown]
	v_add_f64_e64 v[84:85], v[96:97], -v[98:99]
	v_add_f64_e64 v[88:89], v[44:45], -v[48:49]
	v_add_f64_e32 v[102:103], v[44:45], v[48:49]
	v_add_f64_e32 v[72:73], v[72:73], v[42:43]
	v_add_f64_e64 v[90:91], v[76:77], -v[40:41]
	v_add_f64_e32 v[76:77], v[76:77], v[40:41]
	v_mul_f64_e32 v[133:134], s[20:21], v[54:55]
	v_mul_f64_e32 v[114:115], s[18:19], v[54:55]
	;; [unrolled: 1-line block ×12, first 2 shown]
	s_wait_alu 0xfffe
	v_mul_f64_e32 v[189:190], s[28:29], v[74:75]
	v_mul_f64_e32 v[191:192], s[28:29], v[92:93]
	;; [unrolled: 1-line block ×17, first 2 shown]
	v_add_f64_e32 v[44:45], v[78:79], v[44:45]
	v_add_f64_e32 v[60:61], v[80:81], v[60:61]
	v_mul_f64_e32 v[80:81], s[20:21], v[86:87]
	v_mul_f64_e32 v[143:144], s[20:21], v[84:85]
	;; [unrolled: 1-line block ×3, first 2 shown]
	s_mov_b32 s21, 0xbfed1bb4
	v_mul_f64_e32 v[127:128], s[22:23], v[88:89]
	v_mul_f64_e32 v[129:130], s[24:25], v[90:91]
	;; [unrolled: 1-line block ×5, first 2 shown]
	s_wait_alu 0xfffe
	v_mul_f64_e32 v[70:71], s[20:21], v[70:71]
	v_mul_f64_e32 v[90:91], s[20:21], v[90:91]
	;; [unrolled: 1-line block ×5, first 2 shown]
	v_fma_f64 v[197:198], v[82:83], s[8:9], v[125:126]
	v_fma_f64 v[209:210], v[82:83], s[12:13], v[141:142]
	v_fma_f64 v[207:208], v[64:65], s[8:9], -v[131:132]
	v_fma_f64 v[211:212], v[64:65], s[12:13], -v[151:152]
	;; [unrolled: 1-line block ×4, first 2 shown]
	v_fma_f64 v[217:218], v[64:65], s[10:11], v[191:192]
	v_fma_f64 v[125:126], v[82:83], s[8:9], -v[125:126]
	v_fma_f64 v[131:132], v[64:65], s[8:9], v[131:132]
	v_fma_f64 v[219:220], v[64:65], s[14:15], v[171:172]
	v_fma_f64 v[141:142], v[82:83], s[12:13], -v[141:142]
	v_fma_f64 v[151:152], v[64:65], s[12:13], v[151:152]
	;; [unrolled: 3-line block ×4, first 2 shown]
	v_fma_f64 v[159:160], v[76:77], s[8:9], -v[159:160]
	v_fma_f64 v[225:226], v[76:77], s[12:13], v[179:180]
	v_fma_f64 v[179:180], v[76:77], s[12:13], -v[179:180]
	v_mul_f64_e32 v[86:87], s[22:23], v[86:87]
	v_add_f64_e32 v[44:45], v[44:45], v[68:69]
	v_add_f64_e32 v[60:61], v[60:61], v[104:105]
	v_mul_f64_e32 v[68:69], s[20:21], v[74:75]
	v_mul_f64_e32 v[74:75], s[20:21], v[92:93]
	v_fma_f64 v[233:234], v[102:103], s[14:15], v[66:67]
	v_fma_f64 v[66:67], v[102:103], s[14:15], -v[66:67]
	v_fma_f64 v[193:194], v[102:103], s[12:13], v[121:122]
	v_fma_f64 v[205:206], v[72:73], s[10:11], -v[129:130]
	;; [unrolled: 2-line block ×4, first 2 shown]
	v_fma_f64 v[187:188], v[72:73], s[12:13], v[187:188]
	v_fma_f64 v[229:230], v[76:77], s[0:1], v[70:71]
	v_fma_f64 v[231:232], v[72:73], s[0:1], -v[90:91]
	v_fma_f64 v[70:71], v[76:77], s[0:1], -v[70:71]
	v_fma_f64 v[237:238], v[110:111], s[14:15], -v[88:89]
	v_fma_f64 v[88:89], v[110:111], s[14:15], v[88:89]
	v_fma_f64 v[203:204], v[110:111], s[12:13], -v[127:128]
	v_fma_f64 v[121:122], v[102:103], s[12:13], -v[121:122]
	v_fma_f64 v[127:128], v[110:111], s[12:13], v[127:128]
	v_mul_f64_e32 v[78:79], s[18:19], v[84:85]
	v_mul_f64_e32 v[163:164], s[22:23], v[84:85]
	v_add_f64_e32 v[125:126], v[58:59], v[125:126]
	v_add_f64_e32 v[131:132], v[56:57], v[131:132]
	v_mul_f64_e32 v[181:182], s[24:25], v[84:85]
	v_add_f64_e32 v[141:142], v[58:59], v[141:142]
	v_mul_f64_e32 v[84:85], s[26:27], v[84:85]
	v_mul_f64_e32 v[54:55], s[26:27], v[54:55]
	v_fma_f64 v[104:105], v[100:101], s[0:1], v[118:119]
	v_fma_f64 v[201:202], v[108:109], s[0:1], -v[80:81]
	v_fma_f64 v[118:119], v[100:101], s[0:1], -v[118:119]
	v_fma_f64 v[80:81], v[108:109], s[0:1], v[80:81]
	v_fma_f64 v[92:93], v[94:95], s[14:15], v[114:115]
	v_fma_f64 v[114:115], v[94:95], s[14:15], -v[114:115]
	v_add_f64_e32 v[44:45], v[44:45], v[96:97]
	v_add_f64_e32 v[60:61], v[60:61], v[112:113]
	v_fma_f64 v[96:97], v[82:83], s[0:1], -v[68:69]
	v_fma_f64 v[112:113], v[64:65], s[0:1], v[74:75]
	v_fma_f64 v[68:69], v[82:83], s[0:1], v[68:69]
	v_fma_f64 v[74:75], v[64:65], s[0:1], -v[74:75]
	v_fma_f64 v[64:65], v[64:65], s[10:11], -v[191:192]
	v_fma_f64 v[82:83], v[76:77], s[14:15], v[139:140]
	v_fma_f64 v[191:192], v[72:73], s[14:15], -v[149:150]
	v_fma_f64 v[139:140], v[76:77], s[14:15], -v[139:140]
	v_fma_f64 v[149:150], v[72:73], s[14:15], v[149:150]
	v_fma_f64 v[72:73], v[72:73], s[0:1], v[90:91]
	v_add_f64_e32 v[76:77], v[58:59], v[197:198]
	v_add_f64_e32 v[90:91], v[56:57], v[207:208]
	;; [unrolled: 1-line block ×7, first 2 shown]
	v_fma_f64 v[215:216], v[110:111], s[0:1], -v[167:168]
	v_fma_f64 v[167:168], v[110:111], s[0:1], v[167:168]
	v_fma_f64 v[217:218], v[102:103], s[8:9], v[177:178]
	v_fma_f64 v[177:178], v[102:103], s[8:9], -v[177:178]
	v_fma_f64 v[199:200], v[106:107], s[14:15], -v[78:79]
	v_fma_f64 v[78:79], v[106:107], s[14:15], v[78:79]
	v_add_f64_e32 v[44:45], v[44:45], v[98:99]
	v_add_f64_e32 v[60:61], v[60:61], v[116:117]
	v_add_f64_e32 v[96:97], v[58:59], v[96:97]
	v_add_f64_e32 v[98:99], v[56:57], v[112:113]
	v_add_f64_e32 v[112:113], v[56:57], v[219:220]
	v_add_f64_e32 v[116:117], v[56:57], v[151:152]
	v_add_f64_e32 v[151:152], v[58:59], v[161:162]
	v_add_f64_e32 v[161:162], v[56:57], v[171:172]
	v_add_f64_e32 v[171:172], v[58:59], v[189:190]
	v_add_f64_e32 v[58:59], v[58:59], v[68:69]
	v_add_f64_e32 v[68:69], v[56:57], v[74:75]
	v_add_f64_e32 v[56:57], v[56:57], v[64:65]
	v_fma_f64 v[64:65], v[102:103], s[10:11], v[137:138]
	v_fma_f64 v[74:75], v[110:111], s[10:11], -v[147:148]
	v_add_f64_e32 v[82:83], v[82:83], v[197:198]
	v_fma_f64 v[137:138], v[102:103], s[10:11], -v[137:138]
	v_fma_f64 v[147:148], v[110:111], s[10:11], v[147:148]
	v_add_f64_e32 v[70:71], v[70:71], v[211:212]
	v_add_f64_e32 v[72:73], v[72:73], v[213:214]
	v_fma_f64 v[189:190], v[102:103], s[0:1], v[157:158]
	v_fma_f64 v[157:158], v[102:103], s[0:1], -v[157:158]
	v_fma_f64 v[219:220], v[110:111], s[8:9], -v[185:186]
	v_fma_f64 v[185:186], v[110:111], s[8:9], v[185:186]
	v_add_f64_e32 v[76:77], v[195:196], v[76:77]
	v_add_f64_e32 v[102:103], v[123:124], v[125:126]
	;; [unrolled: 1-line block ×7, first 2 shown]
	v_fma_f64 v[139:140], v[100:101], s[8:9], v[135:136]
	v_fma_f64 v[135:136], v[100:101], s[8:9], -v[135:136]
	v_fma_f64 v[141:142], v[108:109], s[8:9], -v[145:146]
	v_fma_f64 v[145:146], v[108:109], s[8:9], v[145:146]
	v_fma_f64 v[159:160], v[108:109], s[10:11], v[165:166]
	v_add_f64_e32 v[44:45], v[44:45], v[52:53]
	v_add_f64_e32 v[50:51], v[60:61], v[50:51]
	;; [unrolled: 1-line block ×12, first 2 shown]
	v_fma_f64 v[161:162], v[100:101], s[14:15], v[175:176]
	v_fma_f64 v[169:170], v[100:101], s[14:15], -v[175:176]
	v_fma_f64 v[175:176], v[100:101], s[12:13], v[62:63]
	v_fma_f64 v[179:180], v[108:109], s[12:13], -v[86:87]
	v_fma_f64 v[62:63], v[100:101], s[12:13], -v[62:63]
	v_fma_f64 v[86:87], v[108:109], s[12:13], v[86:87]
	v_add_f64_e32 v[64:65], v[64:65], v[82:83]
	v_add_f64_e32 v[66:67], v[66:67], v[70:71]
	;; [unrolled: 1-line block ×3, first 2 shown]
	v_fma_f64 v[149:150], v[100:101], s[10:11], v[155:156]
	v_fma_f64 v[155:156], v[100:101], s[10:11], -v[155:156]
	v_fma_f64 v[171:172], v[108:109], s[14:15], v[183:184]
	v_add_f64_e32 v[76:77], v[193:194], v[76:77]
	v_add_f64_e32 v[100:101], v[121:122], v[102:103]
	;; [unrolled: 1-line block ×3, first 2 shown]
	v_fma_f64 v[151:152], v[108:109], s[10:11], -v[165:166]
	v_fma_f64 v[165:166], v[108:109], s[14:15], -v[183:184]
	v_add_f64_e32 v[90:91], v[203:204], v[90:91]
	v_add_f64_e32 v[108:109], v[157:158], v[129:130]
	;; [unrolled: 1-line block ×4, first 2 shown]
	v_fma_f64 v[110:111], v[106:107], s[0:1], -v[143:144]
	v_fma_f64 v[121:122], v[94:95], s[12:13], v[153:154]
	v_fma_f64 v[125:126], v[94:95], s[12:13], -v[153:154]
	v_fma_f64 v[129:130], v[94:95], s[10:11], v[173:174]
	v_fma_f64 v[137:138], v[106:107], s[10:11], v[181:182]
	v_add_f64_e32 v[44:45], v[44:45], v[48:49]
	v_add_f64_e32 v[46:47], v[50:51], v[46:47]
	;; [unrolled: 1-line block ×12, first 2 shown]
	v_fma_f64 v[98:99], v[94:95], s[0:1], v[133:134]
	v_fma_f64 v[147:148], v[106:107], s[8:9], -v[84:85]
	v_fma_f64 v[84:85], v[106:107], s[8:9], v[84:85]
	v_fma_f64 v[112:113], v[94:95], s[0:1], -v[133:134]
	;; [unrolled: 2-line block ×3, first 2 shown]
	v_add_f64_e32 v[64:65], v[139:140], v[64:65]
	v_add_f64_e32 v[62:63], v[62:63], v[66:67]
	;; [unrolled: 1-line block ×3, first 2 shown]
	v_fma_f64 v[143:144], v[94:95], s[8:9], v[54:55]
	v_fma_f64 v[94:95], v[94:95], s[8:9], -v[54:55]
	v_fma_f64 v[127:128], v[106:107], s[12:13], v[163:164]
	v_add_f64_e32 v[54:55], v[104:105], v[76:77]
	v_fma_f64 v[123:124], v[106:107], s[12:13], -v[163:164]
	v_add_f64_e32 v[80:81], v[80:81], v[102:103]
	v_fma_f64 v[131:132], v[106:107], s[10:11], -v[181:182]
	v_add_f64_e32 v[76:77], v[201:202], v[90:91]
	v_add_f64_e32 v[90:91], v[118:119], v[100:101]
	;; [unrolled: 1-line block ×22, first 2 shown]
	v_lshl_add_u32 v80, v239, 4, v235
	v_add_f64_e32 v[40:41], v[199:200], v[76:77]
	v_add_f64_e32 v[46:47], v[114:115], v[90:91]
	v_add_f64_e32 v[58:59], v[125:126], v[100:101]
	v_add_f64_e32 v[54:55], v[112:113], v[82:83]
	v_add_f64_e32 v[48:49], v[110:111], v[74:75]
	v_add_f64_e32 v[66:67], v[70:71], v[36:37]
	v_add_f64_e32 v[64:65], v[86:87], v[38:39]
	v_add_f64_e32 v[38:39], v[133:134], v[102:103]
	v_add_f64_e32 v[36:37], v[137:138], v[104:105]
	v_add_f64_e32 v[56:57], v[127:128], v[52:53]
	v_add_f64_e32 v[52:53], v[116:117], v[106:107]
	v_add_f64_e32 v[70:71], v[121:122], v[72:73]
	v_add_f64_e32 v[68:69], v[123:124], v[88:89]
	v_add_f64_e32 v[74:75], v[143:144], v[96:97]
	v_add_f64_e32 v[78:79], v[129:130], v[108:109]
	v_add_f64_e32 v[76:77], v[131:132], v[118:119]
	v_add_f64_e32 v[72:73], v[147:148], v[135:136]
	ds_store_b128 v236, v[64:67]
	ds_store_b128 v80, v[60:63] offset:144
	ds_store_b128 v80, v[36:39] offset:288
	;; [unrolled: 1-line block ×10, first 2 shown]
.LBB0_9:
	s_wait_alu 0xfffe
	s_or_b32 exec_lo, exec_lo, s16
	global_wb scope:SCOPE_SE
	s_wait_dscnt 0x0
	s_barrier_signal -1
	s_barrier_wait -1
	global_inv scope:SCOPE_SE
	ds_load_b128 v[36:39], v236
	ds_load_b128 v[40:43], v236 offset:528
	ds_load_b128 v[44:47], v236 offset:1056
	;; [unrolled: 1-line block ×8, first 2 shown]
	scratch_load_b128 v[0:3], off, off th:TH_LOAD_LU ; 16-byte Folded Reload
	v_mad_co_u64_u32 v[72:73], null, s6, v120, 0
	v_mad_co_u64_u32 v[74:75], null, s4, v239, 0
	s_mul_u64 s[0:1], s[4:5], 0x210
	s_delay_alu instid0(VALU_DEP_1)
	v_mad_co_u64_u32 v[76:77], null, s7, v120, v[73:74]
	s_wait_dscnt 0x5
	v_mul_f64_e32 v[84:85], v[252:253], v[50:51]
	v_mul_f64_e32 v[6:7], v[252:253], v[48:49]
	s_wait_dscnt 0x4
	v_mul_f64_e32 v[86:87], v[248:249], v[54:55]
	s_wait_dscnt 0x3
	v_mul_f64_e32 v[88:89], v[14:15], v[58:59]
	v_mul_f64_e32 v[82:83], v[22:23], v[46:47]
	v_mad_co_u64_u32 v[79:80], null, s5, v239, v[75:76]
	v_mul_f64_e32 v[80:81], v[26:27], v[42:43]
	v_mul_f64_e32 v[26:27], v[26:27], v[40:41]
	;; [unrolled: 1-line block ×4, first 2 shown]
	s_wait_dscnt 0x2
	v_mul_f64_e32 v[90:91], v[18:19], v[62:63]
	v_mul_f64_e32 v[18:19], v[18:19], v[60:61]
	s_wait_dscnt 0x1
	v_mul_f64_e32 v[92:93], v[30:31], v[66:67]
	v_mul_f64_e32 v[30:31], v[30:31], v[64:65]
	;; [unrolled: 3-line block ×3, first 2 shown]
	v_mov_b32_e32 v73, v76
	v_mov_b32_e32 v75, v79
	s_delay_alu instid0(VALU_DEP_2) | instskip(NEXT) | instid1(VALU_DEP_2)
	v_lshlrev_b64_e32 v[72:73], 4, v[72:73]
	v_lshlrev_b64_e32 v[74:75], 4, v[74:75]
	s_delay_alu instid0(VALU_DEP_2) | instskip(SKIP_1) | instid1(VALU_DEP_3)
	v_add_co_u32 v72, vcc_lo, s2, v72
	s_wait_alu 0xfffd
	v_add_co_ci_u32_e32 v73, vcc_lo, s3, v73, vcc_lo
	s_mul_i32 s2, s5, 0xfffffc90
	s_delay_alu instid0(VALU_DEP_2) | instskip(SKIP_1) | instid1(VALU_DEP_2)
	v_add_co_u32 v72, vcc_lo, v72, v74
	s_wait_alu 0xfffd
	v_add_co_ci_u32_e32 v73, vcc_lo, v73, v75, vcc_lo
	s_wait_alu 0xfffe
	s_sub_co_i32 s5, s2, s4
	s_mov_b32 s2, 0xa052bf5b
	s_mov_b32 s3, 0x3f84afd6
	v_fma_f64 v[30:31], v[28:29], v[66:67], -v[30:31]
	v_fma_f64 v[34:35], v[32:33], v[70:71], -v[34:35]
	s_wait_alu 0xfffe
	s_delay_alu instid0(VALU_DEP_2) | instskip(NEXT) | instid1(VALU_DEP_2)
	v_mul_f64_e32 v[30:31], s[2:3], v[30:31]
	v_mul_f64_e32 v[34:35], s[2:3], v[34:35]
	s_wait_loadcnt 0x0
	v_mul_f64_e32 v[77:78], v[2:3], v[38:39]
	v_mul_f64_e32 v[10:11], v[2:3], v[36:37]
	;; [unrolled: 1-line block ×3, first 2 shown]
	s_delay_alu instid0(VALU_DEP_3) | instskip(NEXT) | instid1(VALU_DEP_3)
	v_fma_f64 v[36:37], v[0:1], v[36:37], v[77:78]
	v_fma_f64 v[8:9], v[0:1], v[38:39], -v[10:11]
	v_fma_f64 v[10:11], v[24:25], v[40:41], v[80:81]
	v_fma_f64 v[24:25], v[24:25], v[42:43], -v[26:27]
	;; [unrolled: 2-line block ×7, first 2 shown]
	v_fma_f64 v[52:53], v[28:29], v[64:65], v[92:93]
	v_fma_f64 v[54:55], v[32:33], v[68:69], v[94:95]
	v_add_co_u32 v56, vcc_lo, v72, s0
	s_wait_alu 0xfffd
	v_add_co_ci_u32_e32 v57, vcc_lo, s1, v73, vcc_lo
	s_delay_alu instid0(VALU_DEP_2) | instskip(SKIP_1) | instid1(VALU_DEP_2)
	v_add_co_u32 v58, vcc_lo, v56, s0
	s_wait_alu 0xfffd
	v_add_co_ci_u32_e32 v59, vcc_lo, s1, v57, vcc_lo
	s_delay_alu instid0(VALU_DEP_1) | instskip(NEXT) | instid1(VALU_DEP_1)
	v_mad_co_u64_u32 v[60:61], null, 0xfffffc90, s4, v[58:59]
	v_add_nc_u32_e32 v61, s5, v61
	v_mul_f64_e32 v[0:1], s[2:3], v[36:37]
	v_mul_f64_e32 v[2:3], s[2:3], v[8:9]
	;; [unrolled: 1-line block ×16, first 2 shown]
	v_add_co_u32 v36, vcc_lo, v60, s0
	s_wait_alu 0xfffd
	v_add_co_ci_u32_e32 v37, vcc_lo, s1, v61, vcc_lo
	s_delay_alu instid0(VALU_DEP_2) | instskip(SKIP_1) | instid1(VALU_DEP_2)
	v_add_co_u32 v38, vcc_lo, v36, s0
	s_wait_alu 0xfffd
	v_add_co_ci_u32_e32 v39, vcc_lo, s1, v37, vcc_lo
	s_delay_alu instid0(VALU_DEP_1) | instskip(NEXT) | instid1(VALU_DEP_1)
	v_mad_co_u64_u32 v[40:41], null, 0xfffffc90, s4, v[38:39]
	v_add_nc_u32_e32 v41, s5, v41
	s_delay_alu instid0(VALU_DEP_2) | instskip(SKIP_1) | instid1(VALU_DEP_2)
	v_add_co_u32 v42, vcc_lo, v40, s0
	s_wait_alu 0xfffd
	v_add_co_ci_u32_e32 v43, vcc_lo, s1, v41, vcc_lo
	s_delay_alu instid0(VALU_DEP_2) | instskip(SKIP_1) | instid1(VALU_DEP_2)
	v_add_co_u32 v44, vcc_lo, v42, s0
	s_wait_alu 0xfffd
	v_add_co_ci_u32_e32 v45, vcc_lo, s1, v43, vcc_lo
	s_clause 0x4
	global_store_b128 v[72:73], v[0:3], off
	global_store_b128 v[56:57], v[4:7], off
	;; [unrolled: 1-line block ×9, first 2 shown]
.LBB0_10:
	s_nop 0
	s_sendmsg sendmsg(MSG_DEALLOC_VGPRS)
	s_endpgm
	.section	.rodata,"a",@progbits
	.p2align	6, 0x0
	.amdhsa_kernel bluestein_single_fwd_len99_dim1_dp_op_CI_CI
		.amdhsa_group_segment_fixed_size 31680
		.amdhsa_private_segment_fixed_size 76
		.amdhsa_kernarg_size 104
		.amdhsa_user_sgpr_count 2
		.amdhsa_user_sgpr_dispatch_ptr 0
		.amdhsa_user_sgpr_queue_ptr 0
		.amdhsa_user_sgpr_kernarg_segment_ptr 1
		.amdhsa_user_sgpr_dispatch_id 0
		.amdhsa_user_sgpr_private_segment_size 0
		.amdhsa_wavefront_size32 1
		.amdhsa_uses_dynamic_stack 0
		.amdhsa_enable_private_segment 1
		.amdhsa_system_sgpr_workgroup_id_x 1
		.amdhsa_system_sgpr_workgroup_id_y 0
		.amdhsa_system_sgpr_workgroup_id_z 0
		.amdhsa_system_sgpr_workgroup_info 0
		.amdhsa_system_vgpr_workitem_id 0
		.amdhsa_next_free_vgpr 256
		.amdhsa_next_free_sgpr 40
		.amdhsa_reserve_vcc 1
		.amdhsa_float_round_mode_32 0
		.amdhsa_float_round_mode_16_64 0
		.amdhsa_float_denorm_mode_32 3
		.amdhsa_float_denorm_mode_16_64 3
		.amdhsa_fp16_overflow 0
		.amdhsa_workgroup_processor_mode 1
		.amdhsa_memory_ordered 1
		.amdhsa_forward_progress 0
		.amdhsa_round_robin_scheduling 0
		.amdhsa_exception_fp_ieee_invalid_op 0
		.amdhsa_exception_fp_denorm_src 0
		.amdhsa_exception_fp_ieee_div_zero 0
		.amdhsa_exception_fp_ieee_overflow 0
		.amdhsa_exception_fp_ieee_underflow 0
		.amdhsa_exception_fp_ieee_inexact 0
		.amdhsa_exception_int_div_zero 0
	.end_amdhsa_kernel
	.text
.Lfunc_end0:
	.size	bluestein_single_fwd_len99_dim1_dp_op_CI_CI, .Lfunc_end0-bluestein_single_fwd_len99_dim1_dp_op_CI_CI
                                        ; -- End function
	.section	.AMDGPU.csdata,"",@progbits
; Kernel info:
; codeLenInByte = 10728
; NumSgprs: 42
; NumVgprs: 256
; ScratchSize: 76
; MemoryBound: 0
; FloatMode: 240
; IeeeMode: 1
; LDSByteSize: 31680 bytes/workgroup (compile time only)
; SGPRBlocks: 5
; VGPRBlocks: 31
; NumSGPRsForWavesPerEU: 42
; NumVGPRsForWavesPerEU: 256
; Occupancy: 5
; WaveLimiterHint : 1
; COMPUTE_PGM_RSRC2:SCRATCH_EN: 1
; COMPUTE_PGM_RSRC2:USER_SGPR: 2
; COMPUTE_PGM_RSRC2:TRAP_HANDLER: 0
; COMPUTE_PGM_RSRC2:TGID_X_EN: 1
; COMPUTE_PGM_RSRC2:TGID_Y_EN: 0
; COMPUTE_PGM_RSRC2:TGID_Z_EN: 0
; COMPUTE_PGM_RSRC2:TIDIG_COMP_CNT: 0
	.text
	.p2alignl 7, 3214868480
	.fill 96, 4, 3214868480
	.type	__hip_cuid_f963a710248701c9,@object ; @__hip_cuid_f963a710248701c9
	.section	.bss,"aw",@nobits
	.globl	__hip_cuid_f963a710248701c9
__hip_cuid_f963a710248701c9:
	.byte	0                               ; 0x0
	.size	__hip_cuid_f963a710248701c9, 1

	.ident	"AMD clang version 19.0.0git (https://github.com/RadeonOpenCompute/llvm-project roc-6.4.0 25133 c7fe45cf4b819c5991fe208aaa96edf142730f1d)"
	.section	".note.GNU-stack","",@progbits
	.addrsig
	.addrsig_sym __hip_cuid_f963a710248701c9
	.amdgpu_metadata
---
amdhsa.kernels:
  - .args:
      - .actual_access:  read_only
        .address_space:  global
        .offset:         0
        .size:           8
        .value_kind:     global_buffer
      - .actual_access:  read_only
        .address_space:  global
        .offset:         8
        .size:           8
        .value_kind:     global_buffer
      - .actual_access:  read_only
        .address_space:  global
        .offset:         16
        .size:           8
        .value_kind:     global_buffer
      - .actual_access:  read_only
        .address_space:  global
        .offset:         24
        .size:           8
        .value_kind:     global_buffer
      - .actual_access:  read_only
        .address_space:  global
        .offset:         32
        .size:           8
        .value_kind:     global_buffer
      - .offset:         40
        .size:           8
        .value_kind:     by_value
      - .address_space:  global
        .offset:         48
        .size:           8
        .value_kind:     global_buffer
      - .address_space:  global
        .offset:         56
        .size:           8
        .value_kind:     global_buffer
      - .address_space:  global
        .offset:         64
        .size:           8
        .value_kind:     global_buffer
      - .address_space:  global
        .offset:         72
        .size:           8
        .value_kind:     global_buffer
      - .offset:         80
        .size:           4
        .value_kind:     by_value
      - .address_space:  global
        .offset:         88
        .size:           8
        .value_kind:     global_buffer
      - .address_space:  global
        .offset:         96
        .size:           8
        .value_kind:     global_buffer
    .group_segment_fixed_size: 31680
    .kernarg_segment_align: 8
    .kernarg_segment_size: 104
    .language:       OpenCL C
    .language_version:
      - 2
      - 0
    .max_flat_workgroup_size: 220
    .name:           bluestein_single_fwd_len99_dim1_dp_op_CI_CI
    .private_segment_fixed_size: 76
    .sgpr_count:     42
    .sgpr_spill_count: 0
    .symbol:         bluestein_single_fwd_len99_dim1_dp_op_CI_CI.kd
    .uniform_work_group_size: 1
    .uses_dynamic_stack: false
    .vgpr_count:     256
    .vgpr_spill_count: 18
    .wavefront_size: 32
    .workgroup_processor_mode: 1
amdhsa.target:   amdgcn-amd-amdhsa--gfx1201
amdhsa.version:
  - 1
  - 2
...

	.end_amdgpu_metadata
